;; amdgpu-corpus repo=ROCm/rocFFT kind=compiled arch=gfx906 opt=O3
	.text
	.amdgcn_target "amdgcn-amd-amdhsa--gfx906"
	.amdhsa_code_object_version 6
	.protected	fft_rtc_back_len1512_factors_2_2_2_3_3_3_7_wgs_63_tpt_63_halfLds_sp_ip_CI_sbrr_dirReg ; -- Begin function fft_rtc_back_len1512_factors_2_2_2_3_3_3_7_wgs_63_tpt_63_halfLds_sp_ip_CI_sbrr_dirReg
	.globl	fft_rtc_back_len1512_factors_2_2_2_3_3_3_7_wgs_63_tpt_63_halfLds_sp_ip_CI_sbrr_dirReg
	.p2align	8
	.type	fft_rtc_back_len1512_factors_2_2_2_3_3_3_7_wgs_63_tpt_63_halfLds_sp_ip_CI_sbrr_dirReg,@function
fft_rtc_back_len1512_factors_2_2_2_3_3_3_7_wgs_63_tpt_63_halfLds_sp_ip_CI_sbrr_dirReg: ; @fft_rtc_back_len1512_factors_2_2_2_3_3_3_7_wgs_63_tpt_63_halfLds_sp_ip_CI_sbrr_dirReg
; %bb.0:
	s_load_dwordx2 s[14:15], s[4:5], 0x18
	s_load_dwordx4 s[8:11], s[4:5], 0x0
	s_load_dwordx2 s[12:13], s[4:5], 0x50
	v_mul_u32_u24_e32 v1, 0x411, v0
	v_add_u32_sdwa v5, s6, v1 dst_sel:DWORD dst_unused:UNUSED_PAD src0_sel:DWORD src1_sel:WORD_1
	s_waitcnt lgkmcnt(0)
	s_load_dwordx2 s[2:3], s[14:15], 0x0
	v_cmp_lt_u64_e64 s[0:1], s[10:11], 2
	v_mov_b32_e32 v3, 0
	v_mov_b32_e32 v1, 0
	;; [unrolled: 1-line block ×3, first 2 shown]
	s_and_b64 vcc, exec, s[0:1]
	v_mov_b32_e32 v2, 0
	s_cbranch_vccnz .LBB0_8
; %bb.1:
	s_load_dwordx2 s[0:1], s[4:5], 0x10
	s_add_u32 s6, s14, 8
	s_addc_u32 s7, s15, 0
	v_mov_b32_e32 v1, 0
	v_mov_b32_e32 v2, 0
	s_waitcnt lgkmcnt(0)
	s_add_u32 s16, s0, 8
	s_addc_u32 s17, s1, 0
	s_mov_b64 s[18:19], 1
.LBB0_2:                                ; =>This Inner Loop Header: Depth=1
	s_load_dwordx2 s[20:21], s[16:17], 0x0
                                        ; implicit-def: $vgpr7_vgpr8
	s_waitcnt lgkmcnt(0)
	v_or_b32_e32 v4, s21, v6
	v_cmp_ne_u64_e32 vcc, 0, v[3:4]
	s_and_saveexec_b64 s[0:1], vcc
	s_xor_b64 s[22:23], exec, s[0:1]
	s_cbranch_execz .LBB0_4
; %bb.3:                                ;   in Loop: Header=BB0_2 Depth=1
	v_cvt_f32_u32_e32 v4, s20
	v_cvt_f32_u32_e32 v7, s21
	s_sub_u32 s0, 0, s20
	s_subb_u32 s1, 0, s21
	v_mac_f32_e32 v4, 0x4f800000, v7
	v_rcp_f32_e32 v4, v4
	v_mul_f32_e32 v4, 0x5f7ffffc, v4
	v_mul_f32_e32 v7, 0x2f800000, v4
	v_trunc_f32_e32 v7, v7
	v_mac_f32_e32 v4, 0xcf800000, v7
	v_cvt_u32_f32_e32 v7, v7
	v_cvt_u32_f32_e32 v4, v4
	v_mul_lo_u32 v8, s0, v7
	v_mul_hi_u32 v9, s0, v4
	v_mul_lo_u32 v11, s1, v4
	v_mul_lo_u32 v10, s0, v4
	v_add_u32_e32 v8, v9, v8
	v_add_u32_e32 v8, v8, v11
	v_mul_hi_u32 v9, v4, v10
	v_mul_lo_u32 v11, v4, v8
	v_mul_hi_u32 v13, v4, v8
	v_mul_hi_u32 v12, v7, v10
	v_mul_lo_u32 v10, v7, v10
	v_mul_hi_u32 v14, v7, v8
	v_add_co_u32_e32 v9, vcc, v9, v11
	v_addc_co_u32_e32 v11, vcc, 0, v13, vcc
	v_mul_lo_u32 v8, v7, v8
	v_add_co_u32_e32 v9, vcc, v9, v10
	v_addc_co_u32_e32 v9, vcc, v11, v12, vcc
	v_addc_co_u32_e32 v10, vcc, 0, v14, vcc
	v_add_co_u32_e32 v8, vcc, v9, v8
	v_addc_co_u32_e32 v9, vcc, 0, v10, vcc
	v_add_co_u32_e32 v4, vcc, v4, v8
	v_addc_co_u32_e32 v7, vcc, v7, v9, vcc
	v_mul_lo_u32 v8, s0, v7
	v_mul_hi_u32 v9, s0, v4
	v_mul_lo_u32 v10, s1, v4
	v_mul_lo_u32 v11, s0, v4
	v_add_u32_e32 v8, v9, v8
	v_add_u32_e32 v8, v8, v10
	v_mul_lo_u32 v12, v4, v8
	v_mul_hi_u32 v13, v4, v11
	v_mul_hi_u32 v14, v4, v8
	;; [unrolled: 1-line block ×3, first 2 shown]
	v_mul_lo_u32 v11, v7, v11
	v_mul_hi_u32 v9, v7, v8
	v_add_co_u32_e32 v12, vcc, v13, v12
	v_addc_co_u32_e32 v13, vcc, 0, v14, vcc
	v_mul_lo_u32 v8, v7, v8
	v_add_co_u32_e32 v11, vcc, v12, v11
	v_addc_co_u32_e32 v10, vcc, v13, v10, vcc
	v_addc_co_u32_e32 v9, vcc, 0, v9, vcc
	v_add_co_u32_e32 v8, vcc, v10, v8
	v_addc_co_u32_e32 v9, vcc, 0, v9, vcc
	v_add_co_u32_e32 v4, vcc, v4, v8
	v_addc_co_u32_e32 v9, vcc, v7, v9, vcc
	v_mad_u64_u32 v[7:8], s[0:1], v5, v9, 0
	v_mul_hi_u32 v10, v5, v4
	v_add_co_u32_e32 v11, vcc, v10, v7
	v_addc_co_u32_e32 v12, vcc, 0, v8, vcc
	v_mad_u64_u32 v[7:8], s[0:1], v6, v4, 0
	v_mad_u64_u32 v[9:10], s[0:1], v6, v9, 0
	v_add_co_u32_e32 v4, vcc, v11, v7
	v_addc_co_u32_e32 v4, vcc, v12, v8, vcc
	v_addc_co_u32_e32 v7, vcc, 0, v10, vcc
	v_add_co_u32_e32 v4, vcc, v4, v9
	v_addc_co_u32_e32 v9, vcc, 0, v7, vcc
	v_mul_lo_u32 v10, s21, v4
	v_mul_lo_u32 v11, s20, v9
	v_mad_u64_u32 v[7:8], s[0:1], s20, v4, 0
	v_add3_u32 v8, v8, v11, v10
	v_sub_u32_e32 v10, v6, v8
	v_mov_b32_e32 v11, s21
	v_sub_co_u32_e32 v7, vcc, v5, v7
	v_subb_co_u32_e64 v10, s[0:1], v10, v11, vcc
	v_subrev_co_u32_e64 v11, s[0:1], s20, v7
	v_subbrev_co_u32_e64 v10, s[0:1], 0, v10, s[0:1]
	v_cmp_le_u32_e64 s[0:1], s21, v10
	v_cndmask_b32_e64 v12, 0, -1, s[0:1]
	v_cmp_le_u32_e64 s[0:1], s20, v11
	v_cndmask_b32_e64 v11, 0, -1, s[0:1]
	v_cmp_eq_u32_e64 s[0:1], s21, v10
	v_cndmask_b32_e64 v10, v12, v11, s[0:1]
	v_add_co_u32_e64 v11, s[0:1], 2, v4
	v_addc_co_u32_e64 v12, s[0:1], 0, v9, s[0:1]
	v_add_co_u32_e64 v13, s[0:1], 1, v4
	v_addc_co_u32_e64 v14, s[0:1], 0, v9, s[0:1]
	v_subb_co_u32_e32 v8, vcc, v6, v8, vcc
	v_cmp_ne_u32_e64 s[0:1], 0, v10
	v_cmp_le_u32_e32 vcc, s21, v8
	v_cndmask_b32_e64 v10, v14, v12, s[0:1]
	v_cndmask_b32_e64 v12, 0, -1, vcc
	v_cmp_le_u32_e32 vcc, s20, v7
	v_cndmask_b32_e64 v7, 0, -1, vcc
	v_cmp_eq_u32_e32 vcc, s21, v8
	v_cndmask_b32_e32 v7, v12, v7, vcc
	v_cmp_ne_u32_e32 vcc, 0, v7
	v_cndmask_b32_e64 v7, v13, v11, s[0:1]
	v_cndmask_b32_e32 v8, v9, v10, vcc
	v_cndmask_b32_e32 v7, v4, v7, vcc
.LBB0_4:                                ;   in Loop: Header=BB0_2 Depth=1
	s_andn2_saveexec_b64 s[0:1], s[22:23]
	s_cbranch_execz .LBB0_6
; %bb.5:                                ;   in Loop: Header=BB0_2 Depth=1
	v_cvt_f32_u32_e32 v4, s20
	s_sub_i32 s22, 0, s20
	v_rcp_iflag_f32_e32 v4, v4
	v_mul_f32_e32 v4, 0x4f7ffffe, v4
	v_cvt_u32_f32_e32 v4, v4
	v_mul_lo_u32 v7, s22, v4
	v_mul_hi_u32 v7, v4, v7
	v_add_u32_e32 v4, v4, v7
	v_mul_hi_u32 v4, v5, v4
	v_mul_lo_u32 v7, v4, s20
	v_add_u32_e32 v8, 1, v4
	v_sub_u32_e32 v7, v5, v7
	v_subrev_u32_e32 v9, s20, v7
	v_cmp_le_u32_e32 vcc, s20, v7
	v_cndmask_b32_e32 v7, v7, v9, vcc
	v_cndmask_b32_e32 v4, v4, v8, vcc
	v_add_u32_e32 v8, 1, v4
	v_cmp_le_u32_e32 vcc, s20, v7
	v_cndmask_b32_e32 v7, v4, v8, vcc
	v_mov_b32_e32 v8, v3
.LBB0_6:                                ;   in Loop: Header=BB0_2 Depth=1
	s_or_b64 exec, exec, s[0:1]
	v_mul_lo_u32 v4, v8, s20
	v_mul_lo_u32 v11, v7, s21
	v_mad_u64_u32 v[9:10], s[0:1], v7, s20, 0
	s_load_dwordx2 s[0:1], s[6:7], 0x0
	s_add_u32 s18, s18, 1
	v_add3_u32 v4, v10, v11, v4
	v_sub_co_u32_e32 v5, vcc, v5, v9
	v_subb_co_u32_e32 v4, vcc, v6, v4, vcc
	s_waitcnt lgkmcnt(0)
	v_mul_lo_u32 v4, s0, v4
	v_mul_lo_u32 v6, s1, v5
	v_mad_u64_u32 v[1:2], s[0:1], s0, v5, v[1:2]
	s_addc_u32 s19, s19, 0
	s_add_u32 s6, s6, 8
	v_add3_u32 v2, v6, v2, v4
	v_mov_b32_e32 v4, s10
	v_mov_b32_e32 v5, s11
	s_addc_u32 s7, s7, 0
	v_cmp_ge_u64_e32 vcc, s[18:19], v[4:5]
	s_add_u32 s16, s16, 8
	s_addc_u32 s17, s17, 0
	s_cbranch_vccnz .LBB0_9
; %bb.7:                                ;   in Loop: Header=BB0_2 Depth=1
	v_mov_b32_e32 v5, v7
	v_mov_b32_e32 v6, v8
	s_branch .LBB0_2
.LBB0_8:
	v_mov_b32_e32 v8, v6
	v_mov_b32_e32 v7, v5
.LBB0_9:
	s_lshl_b64 s[0:1], s[10:11], 3
	s_add_u32 s0, s14, s0
	s_addc_u32 s1, s15, s1
	s_load_dwordx2 s[6:7], s[0:1], 0x0
	s_load_dwordx2 s[10:11], s[4:5], 0x20
                                        ; implicit-def: $vgpr71
                                        ; implicit-def: $vgpr70
                                        ; implicit-def: $vgpr68
                                        ; implicit-def: $vgpr52
                                        ; implicit-def: $vgpr53
                                        ; implicit-def: $vgpr51
                                        ; implicit-def: $vgpr50
                                        ; implicit-def: $vgpr57
                                        ; implicit-def: $vgpr55
                                        ; implicit-def: $vgpr54
                                        ; implicit-def: $vgpr56
	s_waitcnt lgkmcnt(0)
	v_mad_u64_u32 v[1:2], s[0:1], s6, v7, v[1:2]
	s_mov_b32 s0, 0x4104105
	v_mul_lo_u32 v3, s6, v8
	v_mul_lo_u32 v4, s7, v7
	v_mul_hi_u32 v5, v0, s0
	v_cmp_gt_u64_e32 vcc, s[10:11], v[7:8]
	v_cmp_le_u64_e64 s[0:1], s[10:11], v[7:8]
	v_add3_u32 v2, v4, v2, v3
	v_mul_u32_u24_e32 v3, 63, v5
	v_sub_u32_e32 v67, v0, v3
	v_add_u32_e32 v69, 63, v67
                                        ; implicit-def: $sgpr6_sgpr7
	s_and_saveexec_b64 s[4:5], s[0:1]
	s_xor_b64 s[0:1], exec, s[4:5]
	s_cbranch_execz .LBB0_11
; %bb.10:
	v_add_u32_e32 v71, 63, v67
	v_add_u32_e32 v70, 0x7e, v67
	;; [unrolled: 1-line block ×11, first 2 shown]
	s_mov_b64 s[6:7], 0
.LBB0_11:
	s_or_saveexec_b64 s[4:5], s[0:1]
	v_mov_b32_e32 v47, s7
	v_lshlrev_b64 v[0:1], 3, v[1:2]
	v_mov_b32_e32 v31, s7
	v_mov_b32_e32 v25, s7
	;; [unrolled: 1-line block ×23, first 2 shown]
                                        ; implicit-def: $vgpr49
                                        ; implicit-def: $vgpr3
                                        ; implicit-def: $vgpr5
                                        ; implicit-def: $vgpr7
                                        ; implicit-def: $vgpr9
                                        ; implicit-def: $vgpr11
                                        ; implicit-def: $vgpr15
                                        ; implicit-def: $vgpr13
                                        ; implicit-def: $vgpr37
                                        ; implicit-def: $vgpr17
                                        ; implicit-def: $vgpr21
                                        ; implicit-def: $vgpr35
	s_xor_b64 exec, exec, s[4:5]
	s_cbranch_execz .LBB0_13
; %bb.12:
	v_mad_u64_u32 v[2:3], s[0:1], s2, v67, 0
	v_add_u32_e32 v7, 0x2f4, v67
	v_mov_b32_e32 v6, s13
	v_mad_u64_u32 v[3:4], s[0:1], s3, v67, v[3:4]
	v_mad_u64_u32 v[4:5], s[0:1], s2, v7, 0
	v_add_co_u32_e64 v16, s[0:1], s12, v0
	v_addc_co_u32_e64 v17, s[0:1], v6, v1, s[0:1]
	v_mad_u64_u32 v[5:6], s[0:1], s3, v7, v[5:6]
	v_mad_u64_u32 v[6:7], s[0:1], s2, v69, 0
	v_lshlrev_b64 v[2:3], 3, v[2:3]
	v_add_u32_e32 v70, 0x7e, v67
	v_add_co_u32_e64 v8, s[0:1], v16, v2
	v_addc_co_u32_e64 v9, s[0:1], v17, v3, s[0:1]
	v_lshlrev_b64 v[2:3], 3, v[4:5]
	v_mov_b32_e32 v4, v7
	v_mad_u64_u32 v[4:5], s[0:1], s3, v69, v[4:5]
	v_add_u32_e32 v5, 0x333, v67
	v_mad_u64_u32 v[10:11], s[0:1], s2, v5, 0
	v_add_co_u32_e64 v12, s[0:1], v16, v2
	v_mov_b32_e32 v7, v4
	v_mov_b32_e32 v4, v11
	v_addc_co_u32_e64 v13, s[0:1], v17, v3, s[0:1]
	v_mad_u64_u32 v[4:5], s[0:1], s3, v5, v[4:5]
	v_lshlrev_b64 v[2:3], 3, v[6:7]
	v_mad_u64_u32 v[5:6], s[0:1], s2, v70, 0
	v_add_co_u32_e64 v14, s[0:1], v16, v2
	v_mov_b32_e32 v11, v4
	v_mov_b32_e32 v4, v6
	v_addc_co_u32_e64 v15, s[0:1], v17, v3, s[0:1]
	v_mad_u64_u32 v[6:7], s[0:1], s3, v70, v[4:5]
	v_add_u32_e32 v7, 0x372, v67
	v_lshlrev_b64 v[2:3], 3, v[10:11]
	v_mad_u64_u32 v[10:11], s[0:1], s2, v7, 0
	v_add_co_u32_e64 v36, s[0:1], v16, v2
	v_mov_b32_e32 v4, v11
	v_addc_co_u32_e64 v37, s[0:1], v17, v3, s[0:1]
	v_lshlrev_b64 v[2:3], 3, v[5:6]
	v_mad_u64_u32 v[4:5], s[0:1], s3, v7, v[4:5]
	v_add_u32_e32 v68, 0xbd, v67
	v_mad_u64_u32 v[5:6], s[0:1], s2, v68, 0
	v_add_co_u32_e64 v38, s[0:1], v16, v2
	v_mov_b32_e32 v11, v4
	v_mov_b32_e32 v4, v6
	v_addc_co_u32_e64 v39, s[0:1], v17, v3, s[0:1]
	v_mad_u64_u32 v[6:7], s[0:1], s3, v68, v[4:5]
	v_add_u32_e32 v7, 0x3b1, v67
	v_lshlrev_b64 v[2:3], 3, v[10:11]
	v_mad_u64_u32 v[10:11], s[0:1], s2, v7, 0
	v_add_co_u32_e64 v40, s[0:1], v16, v2
	v_mov_b32_e32 v4, v11
	v_addc_co_u32_e64 v41, s[0:1], v17, v3, s[0:1]
	v_lshlrev_b64 v[2:3], 3, v[5:6]
	v_mad_u64_u32 v[4:5], s[0:1], s3, v7, v[4:5]
	v_add_u32_e32 v52, 0xfc, v67
	;; [unrolled: 15-line block ×9, first 2 shown]
	v_mad_u64_u32 v[5:6], s[0:1], s2, v56, 0
	v_add_co_u32_e64 v87, s[0:1], v16, v2
	v_mov_b32_e32 v11, v4
	v_mov_b32_e32 v4, v6
	v_addc_co_u32_e64 v88, s[0:1], v17, v3, s[0:1]
	v_mad_u64_u32 v[6:7], s[0:1], s3, v56, v[4:5]
	v_add_u32_e32 v7, 0x5a9, v67
	v_lshlrev_b64 v[2:3], 3, v[10:11]
	v_mad_u64_u32 v[10:11], s[0:1], s2, v7, 0
	v_add_co_u32_e64 v89, s[0:1], v16, v2
	v_mov_b32_e32 v4, v11
	v_addc_co_u32_e64 v90, s[0:1], v17, v3, s[0:1]
	v_lshlrev_b64 v[2:3], 3, v[5:6]
	v_mad_u64_u32 v[4:5], s[0:1], s3, v7, v[4:5]
	v_add_co_u32_e64 v91, s[0:1], v16, v2
	v_mov_b32_e32 v11, v4
	v_addc_co_u32_e64 v92, s[0:1], v17, v3, s[0:1]
	v_lshlrev_b64 v[2:3], 3, v[10:11]
	v_add_co_u32_e64 v93, s[0:1], v16, v2
	v_addc_co_u32_e64 v94, s[0:1], v17, v3, s[0:1]
	global_load_dwordx2 v[46:47], v[8:9], off
	global_load_dwordx2 v[48:49], v[12:13], off
	;; [unrolled: 1-line block ×15, first 2 shown]
                                        ; kill: killed $vgpr36 killed $vgpr37
                                        ; kill: killed $vgpr60 killed $vgpr61
                                        ; kill: killed $vgpr38 killed $vgpr39
                                        ; kill: killed $vgpr62 killed $vgpr63
                                        ; kill: killed $vgpr40 killed $vgpr41
                                        ; kill: killed $vgpr64 killed $vgpr65
                                        ; kill: killed $vgpr8 killed $vgpr9
                                        ; kill: killed $vgpr42 killed $vgpr43
                                        ; kill: killed $vgpr71 killed $vgpr72
                                        ; kill: killed $vgpr12 killed $vgpr13
                                        ; kill: killed $vgpr44 killed $vgpr45
                                        ; kill: killed $vgpr73 killed $vgpr74
                                        ; kill: killed $vgpr14 killed $vgpr15
                                        ; kill: killed $vgpr58 killed $vgpr59
                                        ; kill: killed $vgpr75 killed $vgpr76
	global_load_dwordx2 v[8:9], v[77:78], off
	global_load_dwordx2 v[38:39], v[79:80], off
	;; [unrolled: 1-line block ×9, first 2 shown]
	v_mov_b32_e32 v71, v69
.LBB0_13:
	s_or_b64 exec, exec, s[4:5]
	s_waitcnt vmcnt(16)
	v_sub_f32_e32 v65, v18, v2
	s_waitcnt vmcnt(14)
	v_sub_f32_e32 v73, v22, v4
	v_lshl_add_u32 v86, v52, 3, 0
	v_lshlrev_b32_e32 v4, 2, v52
	v_fma_f32 v64, v18, 2.0, -v65
	v_lshl_add_u32 v87, v53, 3, 0
	v_sub_u32_e32 v18, v86, v4
	v_lshlrev_b32_e32 v4, 2, v53
	v_sub_f32_e32 v59, v46, v48
	v_sub_f32_e32 v61, v30, v34
	;; [unrolled: 1-line block ×3, first 2 shown]
	v_fma_f32 v72, v22, 2.0, -v73
	v_lshl_add_u32 v88, v51, 3, 0
	v_sub_u32_e32 v22, v87, v4
	v_lshlrev_b32_e32 v4, 2, v51
	v_sub_f32_e32 v48, v47, v49
	v_fma_f32 v58, v46, 2.0, -v59
	v_fma_f32 v60, v30, 2.0, -v61
	;; [unrolled: 1-line block ×3, first 2 shown]
	v_lshl_add_u32 v2, v67, 3, 0
	v_lshl_add_u32 v49, v71, 3, 0
	;; [unrolled: 1-line block ×3, first 2 shown]
	v_sub_u32_e32 v24, v88, v4
	v_lshlrev_b32_e32 v4, 2, v50
	s_waitcnt vmcnt(12)
	v_sub_f32_e32 v75, v26, v6
	s_waitcnt vmcnt(10)
	v_sub_f32_e32 v77, v28, v16
	;; [unrolled: 2-line block ×5, first 2 shown]
	ds_write_b64 v2, v[58:59]
	s_waitcnt vmcnt(2)
	v_sub_f32_e32 v59, v42, v10
	ds_write_b64 v49, v[60:61]
	s_waitcnt vmcnt(0)
	v_sub_f32_e32 v61, v44, v14
	v_lshl_add_u32 v90, v57, 3, 0
	v_sub_u32_e32 v6, v89, v4
	v_lshlrev_b32_e32 v4, 2, v57
	v_fma_f32 v47, v47, 2.0, -v48
	v_fma_f32 v74, v26, 2.0, -v75
	;; [unrolled: 1-line block ×7, first 2 shown]
	v_lshl_add_u32 v66, v70, 3, 0
	v_fma_f32 v60, v44, 2.0, -v61
	v_lshl_add_u32 v10, v68, 3, 0
	v_lshl_add_u32 v91, v55, 3, 0
	;; [unrolled: 1-line block ×5, first 2 shown]
	v_sub_u32_e32 v28, v90, v4
	v_lshlrev_b32_e32 v4, 2, v55
	v_lshlrev_b32_e32 v8, 2, v54
	;; [unrolled: 1-line block ×4, first 2 shown]
	ds_write_b64 v66, v[62:63]
	ds_write_b64 v10, v[64:65]
	;; [unrolled: 1-line block ×10, first 2 shown]
	s_waitcnt lgkmcnt(0)
	; wave barrier
	s_waitcnt lgkmcnt(0)
	v_add_u32_e32 v12, 0xa00, v16
	v_sub_u32_e32 v4, v91, v4
	v_sub_u32_e32 v8, v92, v8
	;; [unrolled: 1-line block ×3, first 2 shown]
	v_lshl_add_u32 v14, v71, 2, 0
	v_lshl_add_u32 v20, v70, 2, 0
	v_add_u32_e32 v34, 0xc00, v16
	v_sub_u32_e32 v26, v10, v40
	v_add_u32_e32 v36, 0xe00, v16
	v_add_u32_e32 v30, 0x1000, v16
	ds_read_b32 v94, v16
	ds_read_b32 v95, v14
	;; [unrolled: 1-line block ×8, first 2 shown]
	v_add_u32_e32 v42, 0x1200, v16
	v_add_u32_e32 v38, 0x1400, v16
	ds_read_b32 v102, v28
	ds_read_b32 v103, v4
	;; [unrolled: 1-line block ×4, first 2 shown]
	ds_read2_b32 v[58:59], v12 offset0:116 offset1:179
	ds_read2_b32 v[60:61], v34 offset0:114 offset1:177
	;; [unrolled: 1-line block ×6, first 2 shown]
	s_waitcnt lgkmcnt(0)
	; wave barrier
	s_waitcnt lgkmcnt(0)
	ds_write_b64 v2, v[47:48]
	v_sub_f32_e32 v47, v31, v35
	v_fma_f32 v46, v31, 2.0, -v47
	ds_write_b64 v49, v[46:47]
	v_sub_f32_e32 v47, v25, v21
	v_fma_f32 v46, v25, 2.0, -v47
	v_sub_f32_e32 v3, v19, v3
	ds_write_b64 v66, v[46:47]
	v_fma_f32 v2, v19, 2.0, -v3
	v_sub_f32_e32 v47, v23, v5
	v_sub_f32_e32 v49, v27, v7
	;; [unrolled: 1-line block ×8, first 2 shown]
	v_and_b32_e32 v5, 1, v67
	v_and_b32_e32 v7, 1, v71
	v_fma_f32 v46, v23, 2.0, -v47
	v_fma_f32 v48, v27, 2.0, -v49
	;; [unrolled: 1-line block ×8, first 2 shown]
	ds_write_b64 v10, v[2:3]
	ds_write_b64 v86, v[46:47]
	ds_write_b64 v87, v[48:49]
	ds_write_b64 v88, v[76:77]
	ds_write_b64 v89, v[78:79]
	ds_write_b64 v90, v[80:81]
	ds_write_b64 v91, v[82:83]
	ds_write_b64 v92, v[43:44]
	ds_write_b64 v93, v[84:85]
	v_lshlrev_b32_e32 v2, 3, v5
	v_lshlrev_b32_e32 v9, 3, v7
	s_waitcnt lgkmcnt(0)
	; wave barrier
	s_waitcnt lgkmcnt(0)
	global_load_dwordx2 v[2:3], v2, s[8:9]
	s_movk_i32 s0, 0x7c
	global_load_dwordx2 v[43:44], v9, s[8:9]
	v_and_b32_e32 v9, 1, v68
	v_lshlrev_b32_e32 v11, 3, v9
	global_load_dwordx2 v[45:46], v11, s[8:9]
	v_and_b32_e32 v11, 1, v53
	v_lshlrev_b32_e32 v13, 3, v11
	;; [unrolled: 3-line block ×5, first 2 shown]
	global_load_dwordx2 v[80:81], v19, s[8:9]
	ds_read2_b32 v[82:83], v12 offset0:116 offset1:179
	ds_read2_b32 v[84:85], v34 offset0:114 offset1:177
	v_lshlrev_b32_e32 v88, 1, v71
	s_movk_i32 s1, 0x2fc
	v_lshlrev_b32_e32 v89, 1, v51
	v_lshlrev_b32_e32 v90, 1, v50
	;; [unrolled: 1-line block ×5, first 2 shown]
	v_and_b32_e32 v106, 7, v50
	s_mov_b32 s4, 0xe38f
	s_waitcnt vmcnt(6)
	v_mul_f32_e32 v41, v62, v3
	s_waitcnt lgkmcnt(1)
	v_mul_f32_e32 v19, v82, v3
	s_waitcnt vmcnt(5)
	v_mul_f32_e32 v23, v83, v44
	v_mul_f32_e32 v25, v59, v44
	v_fmac_f32_e32 v23, v59, v43
	v_fma_f32 v25, v83, v43, -v25
	ds_read2_b32 v[43:44], v36 offset0:112 offset1:175
	s_waitcnt vmcnt(4) lgkmcnt(1)
	v_mul_f32_e32 v31, v85, v46
	v_mul_f32_e32 v33, v61, v46
	s_waitcnt vmcnt(3)
	v_mul_f32_e32 v37, v63, v48
	v_fmac_f32_e32 v31, v61, v45
	v_fma_f32 v33, v85, v45, -v33
	s_waitcnt lgkmcnt(0)
	v_mul_f32_e32 v35, v44, v48
	v_fma_f32 v37, v44, v47, -v37
	ds_read2_b32 v[44:45], v30 offset0:110 offset1:173
	v_mul_f32_e32 v39, v43, v3
	v_fma_f32 v41, v43, v2, -v41
	s_waitcnt vmcnt(2)
	v_mul_f32_e32 v43, v65, v77
	v_fmac_f32_e32 v35, v63, v47
	s_waitcnt lgkmcnt(0)
	v_mul_f32_e32 v47, v45, v77
	v_fma_f32 v49, v45, v76, -v43
	ds_read2_b32 v[45:46], v42 offset0:108 offset1:171
	v_mul_f32_e32 v43, v64, v3
	v_mul_f32_e32 v48, v44, v3
	v_fma_f32 v63, v44, v2, -v43
	s_waitcnt vmcnt(1)
	v_mul_f32_e32 v43, v73, v79
	v_fmac_f32_e32 v48, v64, v2
	s_waitcnt lgkmcnt(0)
	v_fma_f32 v64, v46, v78, -v43
	ds_read2_b32 v[43:44], v38 offset0:106 offset1:169
	v_mul_f32_e32 v59, v72, v3
	v_fmac_f32_e32 v19, v58, v2
	v_mul_f32_e32 v21, v58, v3
	v_mul_f32_e32 v27, v84, v3
	;; [unrolled: 1-line block ×3, first 2 shown]
	v_fmac_f32_e32 v47, v65, v76
	v_mul_f32_e32 v58, v46, v79
	v_mul_f32_e32 v46, v45, v3
	v_fma_f32 v65, v45, v2, -v59
	s_waitcnt lgkmcnt(0)
	v_mul_f32_e32 v45, v43, v3
	v_mul_f32_e32 v3, v74, v3
	v_fma_f32 v21, v82, v2, -v21
	v_fmac_f32_e32 v27, v60, v2
	v_fma_f32 v29, v84, v2, -v29
	v_fmac_f32_e32 v39, v62, v2
	v_fmac_f32_e32 v46, v72, v2
	;; [unrolled: 1-line block ×3, first 2 shown]
	v_fma_f32 v3, v43, v2, -v3
	s_waitcnt vmcnt(0)
	v_mul_f32_e32 v2, v75, v81
	v_fma_f32 v66, v44, v80, -v2
	v_lshlrev_b32_e32 v2, 1, v67
	v_sub_f32_e32 v19, v94, v19
	v_and_or_b32 v60, v2, s0, v5
	v_mul_f32_e32 v43, v44, v81
	v_fma_f32 v44, v94, 2.0, -v19
	v_lshl_add_u32 v83, v60, 2, 0
	s_movk_i32 s0, 0xfc
	v_fmac_f32_e32 v58, v73, v78
	v_fmac_f32_e32 v43, v75, v80
	ds_read_b32 v59, v16
	ds_read_b32 v72, v14
	;; [unrolled: 1-line block ×12, first 2 shown]
	s_waitcnt lgkmcnt(0)
	; wave barrier
	s_waitcnt lgkmcnt(0)
	ds_write2_b32 v83, v44, v19 offset1:2
	v_sub_f32_e32 v19, v95, v23
	v_and_or_b32 v7, v88, s0, v7
	v_fma_f32 v23, v95, 2.0, -v19
	v_lshl_add_u32 v7, v7, 2, 0
	ds_write2_b32 v7, v23, v19 offset1:2
	v_sub_f32_e32 v19, v96, v27
	s_movk_i32 s0, 0x1fc
	v_lshlrev_b32_e32 v27, 1, v70
	v_and_or_b32 v44, v27, s0, v5
	v_fma_f32 v23, v96, 2.0, -v19
	v_lshl_add_u32 v84, v44, 2, 0
	ds_write2_b32 v84, v23, v19 offset1:2
	v_sub_f32_e32 v19, v97, v31
	v_lshlrev_b32_e32 v31, 1, v68
	v_and_or_b32 v9, v31, s0, v9
	v_fma_f32 v23, v97, 2.0, -v19
	v_lshl_add_u32 v9, v9, 2, 0
	ds_write2_b32 v9, v23, v19 offset1:2
	v_sub_f32_e32 v19, v98, v39
	s_movk_i32 s0, 0x3fc
	v_lshlrev_b32_e32 v39, 1, v52
	v_and_or_b32 v44, v39, s0, v5
	v_fma_f32 v23, v98, 2.0, -v19
	v_lshl_add_u32 v85, v44, 2, 0
	ds_write2_b32 v85, v23, v19 offset1:2
	v_sub_f32_e32 v19, v99, v35
	v_lshlrev_b32_e32 v35, 1, v53
	v_and_or_b32 v11, v35, s1, v11
	v_fma_f32 v23, v99, 2.0, -v19
	v_lshl_add_u32 v11, v11, 2, 0
	ds_write2_b32 v11, v23, v19 offset1:2
	v_sub_f32_e32 v19, v100, v48
	v_and_or_b32 v44, v89, s0, v5
	v_fma_f32 v23, v100, 2.0, -v19
	v_lshl_add_u32 v86, v44, 2, 0
	ds_write2_b32 v86, v23, v19 offset1:2
	v_sub_f32_e32 v19, v101, v47
	v_and_or_b32 v13, v90, s0, v13
	v_fma_f32 v23, v101, 2.0, -v19
	v_lshl_add_u32 v13, v13, 2, 0
	ds_write2_b32 v13, v23, v19 offset1:2
	v_lshlrev_b32_e32 v19, 1, v57
	s_movk_i32 s0, 0x7fc
	v_sub_f32_e32 v23, v102, v46
	v_and_or_b32 v46, v19, s0, v5
	v_fma_f32 v44, v102, 2.0, -v23
	v_lshl_add_u32 v87, v46, 2, 0
	s_movk_i32 s0, 0x4fc
	ds_write2_b32 v87, v44, v23 offset1:2
	v_sub_f32_e32 v23, v103, v58
	v_and_or_b32 v15, v91, s0, v15
	v_fma_f32 v44, v103, 2.0, -v23
	v_lshl_add_u32 v15, v15, 2, 0
	s_movk_i32 s0, 0x5fc
	ds_write2_b32 v15, v44, v23 offset1:2
	v_sub_f32_e32 v23, v104, v45
	v_and_or_b32 v5, v92, s0, v5
	v_fma_f32 v44, v104, 2.0, -v23
	v_lshl_add_u32 v5, v5, 2, 0
	ds_write2_b32 v5, v44, v23 offset1:2
	v_sub_f32_e32 v23, v105, v43
	v_and_or_b32 v17, v93, s0, v17
	v_fma_f32 v43, v105, 2.0, -v23
	v_lshl_add_u32 v17, v17, 2, 0
	v_sub_f32_e32 v21, v59, v21
	ds_write2_b32 v17, v43, v23 offset1:2
	v_fma_f32 v23, v59, 2.0, -v21
	s_waitcnt lgkmcnt(0)
	; wave barrier
	s_waitcnt lgkmcnt(0)
	ds_read_b32 v94, v16
	ds_read_b32 v95, v14
	;; [unrolled: 1-line block ×12, first 2 shown]
	ds_read2_b32 v[43:44], v12 offset0:116 offset1:179
	ds_read2_b32 v[45:46], v34 offset0:114 offset1:177
	;; [unrolled: 1-line block ×6, first 2 shown]
	s_waitcnt lgkmcnt(0)
	; wave barrier
	s_waitcnt lgkmcnt(0)
	ds_write2_b32 v83, v23, v21 offset1:2
	v_sub_f32_e32 v21, v72, v25
	v_fma_f32 v23, v72, 2.0, -v21
	ds_write2_b32 v7, v23, v21 offset1:2
	v_sub_f32_e32 v7, v73, v29
	v_fma_f32 v21, v73, 2.0, -v7
	;; [unrolled: 3-line block ×8, first 2 shown]
	v_sub_f32_e32 v11, v80, v64
	v_sub_f32_e32 v3, v81, v3
	;; [unrolled: 1-line block ×3, first 2 shown]
	v_fma_f32 v13, v80, 2.0, -v11
	v_fma_f32 v21, v81, 2.0, -v3
	;; [unrolled: 1-line block ×3, first 2 shown]
	ds_write2_b32 v87, v9, v7 offset1:2
	ds_write2_b32 v15, v13, v11 offset1:2
	;; [unrolled: 1-line block ×4, first 2 shown]
	v_and_b32_e32 v3, 3, v70
	v_lshlrev_b32_e32 v5, 3, v3
	s_waitcnt lgkmcnt(0)
	; wave barrier
	s_waitcnt lgkmcnt(0)
	global_load_dwordx2 v[63:64], v5, s[8:9] offset:16
	v_and_b32_e32 v5, 3, v68
	v_lshlrev_b32_e32 v7, 3, v5
	global_load_dwordx2 v[65:66], v7, s[8:9] offset:16
	v_and_b32_e32 v7, 3, v51
	v_lshlrev_b32_e32 v9, 3, v7
	;; [unrolled: 3-line block ×4, first 2 shown]
	global_load_dwordx2 v[76:77], v13, s[8:9] offset:16
	v_and_b32_e32 v13, 3, v55
	v_and_b32_e32 v17, 3, v67
	v_lshlrev_b32_e32 v15, 3, v13
	v_lshlrev_b32_e32 v21, 3, v17
	global_load_dwordx2 v[78:79], v21, s[8:9] offset:16
	global_load_dwordx2 v[80:81], v15, s[8:9] offset:16
	v_and_b32_e32 v15, 3, v53
	v_lshlrev_b32_e32 v21, 3, v15
	global_load_dwordx2 v[82:83], v21, s[8:9] offset:16
	v_and_b32_e32 v21, 3, v54
	v_lshlrev_b32_e32 v23, 3, v21
	;; [unrolled: 3-line block ×3, first 2 shown]
	global_load_dwordx2 v[84:85], v25, s[8:9] offset:16
	ds_read2_b32 v[86:87], v34 offset0:114 offset1:177
	s_movk_i32 s0, 0x78
	s_movk_i32 s1, 0x2f8
	s_waitcnt vmcnt(9) lgkmcnt(0)
	v_mul_f32_e32 v25, v86, v64
	v_mul_f32_e32 v29, v45, v64
	v_fmac_f32_e32 v25, v45, v63
	v_fma_f32 v29, v86, v63, -v29
	ds_read2_b32 v[63:64], v30 offset0:110 offset1:173
	s_waitcnt vmcnt(8)
	v_mul_f32_e32 v33, v87, v66
	v_fmac_f32_e32 v33, v46, v65
	v_mul_f32_e32 v37, v46, v66
	ds_read2_b32 v[45:46], v12 offset0:116 offset1:179
	s_waitcnt vmcnt(7) lgkmcnt(1)
	v_mul_f32_e32 v49, v63, v73
	v_fmac_f32_e32 v49, v57, v72
	v_mul_f32_e32 v41, v57, v73
	ds_read2_b32 v[56:57], v36 offset0:112 offset1:175
	v_fma_f32 v63, v63, v72, -v41
	s_waitcnt vmcnt(6)
	v_mul_f32_e32 v41, v58, v75
	v_fma_f32 v37, v87, v65, -v37
	v_mul_f32_e32 v65, v64, v75
	v_fma_f32 v64, v64, v74, -v41
	s_waitcnt vmcnt(5)
	v_mul_f32_e32 v41, v44, v77
	v_fmac_f32_e32 v65, v58, v74
	s_waitcnt lgkmcnt(1)
	v_mul_f32_e32 v58, v46, v77
	v_fma_f32 v46, v46, v76, -v41
	s_waitcnt vmcnt(4)
	v_mul_f32_e32 v41, v43, v79
	v_mul_f32_e32 v66, v45, v79
	v_fma_f32 v45, v45, v78, -v41
	s_waitcnt vmcnt(2) lgkmcnt(0)
	v_mul_f32_e32 v72, v57, v83
	v_mul_f32_e32 v41, v48, v83
	v_fmac_f32_e32 v72, v48, v82
	v_fma_f32 v48, v57, v82, -v41
	ds_read2_b32 v[41:42], v42 offset0:108 offset1:171
	v_fmac_f32_e32 v66, v43, v78
	v_mul_f32_e32 v57, v56, v79
	v_mul_f32_e32 v43, v47, v79
	v_fmac_f32_e32 v57, v47, v78
	v_fma_f32 v47, v56, v78, -v43
	v_mul_f32_e32 v43, v59, v79
	v_fmac_f32_e32 v58, v44, v76
	s_waitcnt lgkmcnt(0)
	v_mul_f32_e32 v56, v41, v79
	v_fma_f32 v41, v41, v78, -v43
	ds_read2_b32 v[43:44], v38 offset0:106 offset1:169
	v_fmac_f32_e32 v56, v59, v78
	v_mul_f32_e32 v59, v42, v81
	v_fmac_f32_e32 v59, v60, v80
	v_mul_f32_e32 v60, v60, v81
	v_fma_f32 v42, v42, v80, -v60
	s_waitcnt vmcnt(1) lgkmcnt(0)
	v_mul_f32_e32 v60, v43, v55
	v_mul_f32_e32 v55, v61, v55
	v_fmac_f32_e32 v60, v61, v54
	v_fma_f32 v43, v43, v54, -v55
	s_waitcnt vmcnt(0)
	v_mul_f32_e32 v54, v44, v85
	v_mul_f32_e32 v55, v62, v85
	v_fmac_f32_e32 v54, v62, v84
	v_fma_f32 v44, v44, v84, -v55
	ds_read_b32 v61, v8
	ds_read_b32 v62, v32
	v_sub_f32_e32 v8, v94, v66
	v_and_or_b32 v55, v2, s0, v17
	v_fma_f32 v32, v94, 2.0, -v8
	v_lshl_add_u32 v82, v55, 2, 0
	s_movk_i32 s0, 0xf8
	ds_read_b32 v73, v4
	ds_read_b32 v74, v28
	;; [unrolled: 1-line block ×10, first 2 shown]
	s_waitcnt lgkmcnt(0)
	; wave barrier
	s_waitcnt lgkmcnt(0)
	ds_write2_b32 v82, v32, v8 offset1:4
	v_and_or_b32 v8, v88, s0, v11
	v_sub_f32_e32 v11, v95, v58
	s_movk_i32 s0, 0x1f8
	v_fma_f32 v32, v95, 2.0, -v11
	v_lshl_add_u32 v83, v8, 2, 0
	v_and_or_b32 v3, v27, s0, v3
	v_sub_f32_e32 v8, v96, v25
	ds_write2_b32 v83, v32, v11 offset1:4
	v_fma_f32 v11, v96, 2.0, -v8
	v_lshl_add_u32 v25, v3, 2, 0
	v_and_or_b32 v3, v31, s0, v5
	v_sub_f32_e32 v5, v97, v33
	ds_write2_b32 v25, v11, v8 offset1:4
	v_fma_f32 v8, v97, 2.0, -v5
	v_lshl_add_u32 v27, v3, 2, 0
	s_movk_i32 s0, 0x3f8
	ds_write2_b32 v27, v8, v5 offset1:4
	v_sub_f32_e32 v3, v98, v57
	v_and_or_b32 v8, v39, s0, v17
	v_fma_f32 v5, v98, 2.0, -v3
	v_lshl_add_u32 v33, v8, 2, 0
	ds_write2_b32 v33, v5, v3 offset1:4
	v_and_or_b32 v3, v35, s1, v15
	v_sub_f32_e32 v5, v99, v72
	v_lshl_add_u32 v35, v3, 2, 0
	v_sub_f32_e32 v39, v4, v45
	v_sub_f32_e32 v3, v100, v49
	v_and_or_b32 v7, v89, s0, v7
	v_fma_f32 v8, v99, 2.0, -v5
	v_fma_f32 v45, v4, 2.0, -v39
	;; [unrolled: 1-line block ×3, first 2 shown]
	v_sub_f32_e32 v49, v104, v60
	v_lshl_add_u32 v60, v7, 2, 0
	ds_write2_b32 v35, v8, v5 offset1:4
	ds_write2_b32 v60, v4, v3 offset1:4
	v_and_or_b32 v3, v90, s0, v9
	s_movk_i32 s0, 0x7f8
	v_lshl_add_u32 v9, v3, 2, 0
	v_and_or_b32 v3, v19, s0, v17
	s_movk_i32 s0, 0x4f8
	v_lshl_add_u32 v72, v3, 2, 0
	v_and_or_b32 v3, v91, s0, v13
	s_movk_i32 s0, 0x5f8
	v_sub_f32_e32 v5, v101, v65
	v_sub_f32_e32 v11, v102, v56
	v_lshl_add_u32 v84, v3, 2, 0
	v_and_or_b32 v3, v92, s0, v21
	v_fma_f32 v8, v101, 2.0, -v5
	v_fma_f32 v15, v102, 2.0, -v11
	v_sub_f32_e32 v31, v103, v59
	v_sub_f32_e32 v54, v105, v54
	v_lshl_add_u32 v21, v3, 2, 0
	v_and_or_b32 v3, v93, s0, v23
	v_fma_f32 v32, v103, 2.0, -v31
	v_fma_f32 v55, v104, 2.0, -v49
	;; [unrolled: 1-line block ×3, first 2 shown]
	ds_write2_b32 v9, v8, v5 offset1:4
	ds_write2_b32 v72, v15, v11 offset1:4
	v_lshl_add_u32 v23, v3, 2, 0
	v_add_u32_e32 v11, 0x800, v16
	ds_write2_b32 v84, v32, v31 offset1:4
	ds_write2_b32 v21, v55, v49 offset1:4
	;; [unrolled: 1-line block ×3, first 2 shown]
	s_waitcnt lgkmcnt(0)
	; wave barrier
	s_waitcnt lgkmcnt(0)
	ds_read_b32 v15, v16
	ds_read2_b32 v[31:32], v34 offset0:177 offset1:240
	ds_read2_b32 v[54:55], v11 offset0:55 offset1:118
	;; [unrolled: 1-line block ×4, first 2 shown]
	ds_read_b32 v8, v26
	ds_read_b32 v7, v18
	;; [unrolled: 1-line block ×8, first 2 shown]
	ds_read_b32 v19, v16 offset:5796
	ds_read2_b32 v[65:66], v30 offset0:173 offset1:236
	ds_read2_b32 v[92:93], v34 offset0:51 offset1:114
	;; [unrolled: 1-line block ×3, first 2 shown]
	s_waitcnt lgkmcnt(0)
	; wave barrier
	s_waitcnt lgkmcnt(0)
	ds_write2_b32 v82, v45, v39 offset1:4
	v_sub_f32_e32 v39, v75, v46
	v_fma_f32 v45, v75, 2.0, -v39
	v_sub_f32_e32 v29, v76, v29
	ds_write2_b32 v83, v45, v39 offset1:4
	v_fma_f32 v39, v76, 2.0, -v29
	ds_write2_b32 v25, v39, v29 offset1:4
	v_sub_f32_e32 v25, v77, v37
	v_fma_f32 v29, v77, 2.0, -v25
	v_sub_f32_e32 v37, v78, v47
	v_sub_f32_e32 v45, v79, v48
	;; [unrolled: 1-line block ×8, first 2 shown]
	v_fma_f32 v39, v78, 2.0, -v37
	v_fma_f32 v46, v79, 2.0, -v45
	;; [unrolled: 1-line block ×8, first 2 shown]
	ds_write2_b32 v27, v29, v25 offset1:4
	ds_write2_b32 v33, v39, v37 offset1:4
	;; [unrolled: 1-line block ×9, first 2 shown]
	v_and_b32_e32 v23, 7, v71
	v_lshlrev_b32_e32 v9, 4, v23
	v_and_b32_e32 v101, 7, v70
	s_waitcnt lgkmcnt(0)
	; wave barrier
	s_waitcnt lgkmcnt(0)
	global_load_dwordx4 v[41:44], v9, s[8:9] offset:48
	v_lshlrev_b32_e32 v9, 4, v101
	global_load_dwordx4 v[46:49], v9, s[8:9] offset:48
	v_and_b32_e32 v102, 7, v68
	v_lshlrev_b32_e32 v9, 4, v102
	global_load_dwordx4 v[61:64], v9, s[8:9] offset:48
	v_and_b32_e32 v103, 7, v52
	;; [unrolled: 3-line block ×5, first 2 shown]
	v_lshlrev_b32_e32 v9, 4, v105
	global_load_dwordx4 v[84:87], v9, s[8:9] offset:48
	v_lshlrev_b32_e32 v9, 4, v106
	global_load_dwordx4 v[88:91], v9, s[8:9] offset:48
	ds_read2_b32 v[96:97], v11 offset0:55 offset1:118
	ds_read2_b32 v[98:99], v30 offset0:47 offset1:110
	ds_read_b32 v25, v28
	s_movk_i32 s0, 0xab
	s_mov_b32 s1, 0xaaab
	s_waitcnt vmcnt(7) lgkmcnt(2)
	v_mul_f32_e32 v33, v96, v42
	v_mul_f32_e32 v9, v54, v42
	v_fmac_f32_e32 v33, v54, v41
	v_fma_f32 v45, v96, v41, -v9
	s_waitcnt lgkmcnt(1)
	v_mul_f32_e32 v41, v98, v44
	v_mul_f32_e32 v9, v56, v44
	s_waitcnt vmcnt(6)
	v_mul_f32_e32 v35, v97, v47
	v_fmac_f32_e32 v41, v56, v43
	v_fma_f32 v56, v98, v43, -v9
	v_fmac_f32_e32 v35, v55, v46
	v_mul_f32_e32 v9, v55, v47
	ds_read2_b32 v[43:44], v11 offset0:181 offset1:244
	ds_read2_b32 v[54:55], v30 offset0:173 offset1:236
	v_fma_f32 v46, v97, v46, -v9
	v_mul_f32_e32 v9, v57, v49
	v_mul_f32_e32 v42, v99, v49
	v_fma_f32 v60, v99, v48, -v9
	s_waitcnt vmcnt(5)
	v_mul_f32_e32 v9, v58, v62
	v_fmac_f32_e32 v42, v57, v48
	s_waitcnt lgkmcnt(1)
	v_mul_f32_e32 v37, v43, v62
	v_fma_f32 v48, v43, v61, -v9
	s_waitcnt lgkmcnt(0)
	v_mul_f32_e32 v47, v54, v64
	v_mul_f32_e32 v9, v65, v64
	v_fmac_f32_e32 v37, v58, v61
	v_fmac_f32_e32 v47, v65, v63
	v_fma_f32 v61, v54, v63, -v9
	ds_read2_b32 v[63:64], v34 offset0:51 offset1:114
	ds_read2_b32 v[96:97], v38 offset0:43 offset1:106
	s_waitcnt vmcnt(4)
	v_mul_f32_e32 v9, v59, v73
	v_fma_f32 v57, v44, v72, -v9
	v_mul_f32_e32 v9, v66, v75
	v_fma_f32 v62, v55, v74, -v9
	s_waitcnt vmcnt(3)
	v_mul_f32_e32 v9, v92, v77
	s_waitcnt lgkmcnt(1)
	v_fma_f32 v58, v63, v76, -v9
	v_mul_f32_e32 v9, v94, v79
	v_mul_f32_e32 v39, v44, v73
	;; [unrolled: 1-line block ×3, first 2 shown]
	s_waitcnt lgkmcnt(0)
	v_fma_f32 v63, v96, v78, -v9
	s_waitcnt vmcnt(2)
	v_mul_f32_e32 v9, v93, v81
	v_fmac_f32_e32 v39, v59, v72
	v_fma_f32 v59, v64, v80, -v9
	v_mul_f32_e32 v9, v95, v83
	v_mul_f32_e32 v44, v64, v81
	v_fma_f32 v64, v97, v82, -v9
	ds_read_b32 v9, v6
	ds_read2_b32 v[72:73], v34 offset0:177 offset1:240
	v_mul_f32_e32 v49, v55, v75
	s_waitcnt vmcnt(1)
	v_mul_f32_e32 v27, v100, v85
	v_fmac_f32_e32 v49, v66, v74
	v_mul_f32_e32 v66, v25, v85
	v_fma_f32 v74, v25, v84, -v27
	v_mul_f32_e32 v25, v32, v87
	v_mul_f32_e32 v54, v96, v79
	s_waitcnt lgkmcnt(0)
	v_mul_f32_e32 v75, v73, v87
	v_fma_f32 v73, v73, v86, -v25
	s_waitcnt vmcnt(0)
	v_mul_f32_e32 v65, v72, v89
	v_mul_f32_e32 v25, v31, v89
	v_fmac_f32_e32 v43, v92, v76
	v_fmac_f32_e32 v54, v94, v78
	;; [unrolled: 1-line block ×5, first 2 shown]
	v_fma_f32 v72, v72, v88, -v25
	ds_read_b32 v76, v16 offset:5796
	ds_read_b32 v31, v26
	ds_read_b32 v29, v18
	;; [unrolled: 1-line block ×7, first 2 shown]
	s_waitcnt lgkmcnt(7)
	v_mul_f32_e32 v79, v76, v91
	v_fmac_f32_e32 v44, v93, v80
	v_fmac_f32_e32 v79, v19, v90
	v_mul_f32_e32 v19, v19, v91
	v_add_f32_e32 v80, v66, v75
	v_mul_f32_e32 v55, v97, v83
	v_fma_f32 v76, v76, v90, -v19
	v_add_f32_e32 v19, v15, v66
	v_fmac_f32_e32 v15, -0.5, v80
	v_fmac_f32_e32 v55, v95, v82
	v_lshrrev_b32_e32 v80, 3, v67
	v_sub_f32_e32 v81, v74, v73
	v_mov_b32_e32 v82, v15
	v_mul_u32_u24_e32 v80, 24, v80
	v_fmac_f32_e32 v82, 0xbf5db3d7, v81
	v_fmac_f32_e32 v15, 0x3f5db3d7, v81
	v_lshrrev_b32_e32 v81, 3, v71
	v_or_b32_e32 v80, v80, v105
	v_mul_lo_u32 v81, v81, 24
	v_add_f32_e32 v19, v19, v75
	v_lshl_add_u32 v80, v80, 2, 0
	s_waitcnt lgkmcnt(0)
	; wave barrier
	s_waitcnt lgkmcnt(0)
	ds_write2_b32 v80, v19, v82 offset1:8
	v_add_f32_e32 v82, v33, v41
	v_add_f32_e32 v19, v17, v33
	v_fmac_f32_e32 v17, -0.5, v82
	ds_write_b32 v80, v15 offset:64
	v_or_b32_e32 v15, v81, v23
	v_sub_f32_e32 v23, v45, v56
	v_mov_b32_e32 v81, v17
	v_add_f32_e32 v19, v19, v41
	v_fmac_f32_e32 v81, 0xbf5db3d7, v23
	v_lshl_add_u32 v82, v15, 2, 0
	ds_write2_b32 v82, v19, v81 offset1:8
	v_lshrrev_b32_e32 v19, 3, v70
	v_mul_lo_u32 v19, v19, 24
	v_fmac_f32_e32 v17, 0x3f5db3d7, v23
	v_add_f32_e32 v23, v35, v42
	v_add_f32_e32 v15, v13, v35
	v_fmac_f32_e32 v13, -0.5, v23
	ds_write_b32 v82, v17 offset:64
	v_or_b32_e32 v17, v19, v101
	v_sub_f32_e32 v19, v46, v60
	v_mov_b32_e32 v23, v13
	v_add_f32_e32 v15, v15, v42
	v_fmac_f32_e32 v23, 0xbf5db3d7, v19
	v_lshl_add_u32 v81, v17, 2, 0
	ds_write2_b32 v81, v15, v23 offset1:8
	v_lshrrev_b32_e32 v23, 3, v68
	v_mul_lo_u32 v23, v23, 24
	v_add_f32_e32 v15, v78, v74
	v_add_f32_e32 v83, v15, v73
	;; [unrolled: 1-line block ×4, first 2 shown]
	v_fmac_f32_e32 v78, -0.5, v15
	v_fmac_f32_e32 v13, 0x3f5db3d7, v19
	v_add_f32_e32 v15, v8, v37
	v_fmac_f32_e32 v8, -0.5, v17
	v_sub_f32_e32 v17, v48, v61
	v_mov_b32_e32 v19, v8
	ds_write_b32 v81, v13 offset:64
	v_or_b32_e32 v13, v23, v102
	v_fmac_f32_e32 v19, 0xbf5db3d7, v17
	v_add_f32_e32 v15, v15, v47
	v_lshl_add_u32 v73, v13, 2, 0
	ds_write2_b32 v73, v15, v19 offset1:8
	v_add_f32_e32 v15, v39, v49
	v_add_f32_e32 v13, v7, v39
	v_fmac_f32_e32 v7, -0.5, v15
	v_lshrrev_b32_e32 v19, 3, v52
	v_fmac_f32_e32 v8, 0x3f5db3d7, v17
	v_sub_f32_e32 v15, v57, v62
	v_mov_b32_e32 v17, v7
	v_mul_lo_u32 v19, v19, 24
	v_add_f32_e32 v23, v43, v54
	v_fmac_f32_e32 v17, 0xbf5db3d7, v15
	v_fmac_f32_e32 v7, 0x3f5db3d7, v15
	v_add_f32_e32 v15, v5, v43
	v_fmac_f32_e32 v5, -0.5, v23
	v_lshrrev_b32_e32 v23, 3, v53
	v_mul_lo_u32 v23, v23, 24
	ds_write_b32 v73, v8 offset:64
	v_or_b32_e32 v8, v19, v103
	v_lshl_add_u32 v74, v8, 2, 0
	v_sub_f32_e32 v66, v66, v75
	v_add_f32_e32 v13, v13, v49
	v_sub_f32_e32 v8, v58, v63
	ds_write_b32 v74, v7 offset:64
	v_or_b32_e32 v7, v23, v21
	v_mov_b32_e32 v96, v78
	ds_write2_b32 v74, v13, v17 offset1:8
	v_mov_b32_e32 v13, v5
	v_fmac_f32_e32 v5, 0x3f5db3d7, v8
	v_lshl_add_u32 v75, v7, 2, 0
	v_fmac_f32_e32 v96, 0x3f5db3d7, v66
	v_fmac_f32_e32 v78, 0xbf5db3d7, v66
	v_add_f32_e32 v66, v77, v45
	v_add_f32_e32 v45, v45, v56
	ds_write_b32 v75, v5 offset:64
	v_lshrrev_b32_e32 v5, 3, v51
	v_fmac_f32_e32 v77, -0.5, v45
	v_mul_lo_u32 v5, v5, 24
	v_sub_f32_e32 v33, v33, v41
	v_mov_b32_e32 v41, v77
	v_add_f32_e32 v45, v46, v60
	v_fmac_f32_e32 v41, 0x3f5db3d7, v33
	v_fmac_f32_e32 v77, 0xbf5db3d7, v33
	v_add_f32_e32 v33, v32, v46
	v_fmac_f32_e32 v32, -0.5, v45
	v_add_f32_e32 v17, v44, v55
	v_sub_f32_e32 v35, v35, v42
	v_mov_b32_e32 v42, v32
	v_add_f32_e32 v45, v48, v61
	v_fmac_f32_e32 v13, 0xbf5db3d7, v8
	v_add_f32_e32 v8, v4, v44
	v_fmac_f32_e32 v4, -0.5, v17
	v_fmac_f32_e32 v42, 0x3f5db3d7, v35
	v_fmac_f32_e32 v32, 0xbf5db3d7, v35
	v_add_f32_e32 v35, v31, v48
	v_fmac_f32_e32 v31, -0.5, v45
	v_sub_f32_e32 v17, v59, v64
	v_mov_b32_e32 v19, v4
	v_or_b32_e32 v5, v5, v104
	v_sub_f32_e32 v37, v37, v47
	v_mov_b32_e32 v45, v31
	v_add_f32_e32 v46, v57, v62
	v_fmac_f32_e32 v19, 0xbf5db3d7, v17
	v_add_f32_e32 v15, v15, v54
	v_add_f32_e32 v8, v8, v55
	v_lshl_add_u32 v97, v5, 2, 0
	v_fmac_f32_e32 v45, 0x3f5db3d7, v37
	v_fmac_f32_e32 v31, 0xbf5db3d7, v37
	v_add_f32_e32 v37, v29, v57
	v_fmac_f32_e32 v29, -0.5, v46
	ds_write2_b32 v75, v15, v13 offset1:8
	ds_write2_b32 v97, v8, v19 offset1:8
	v_lshrrev_b32_e32 v8, 3, v50
	v_sub_f32_e32 v39, v39, v49
	v_mov_b32_e32 v46, v29
	v_add_f32_e32 v47, v58, v63
	v_mul_lo_u32 v8, v8, 24
	v_fmac_f32_e32 v46, 0x3f5db3d7, v39
	v_fmac_f32_e32 v29, 0xbf5db3d7, v39
	v_add_f32_e32 v39, v27, v58
	v_fmac_f32_e32 v27, -0.5, v47
	v_sub_f32_e32 v43, v43, v54
	v_mov_b32_e32 v47, v27
	v_add_f32_e32 v48, v59, v64
	v_add_f32_e32 v13, v65, v79
	v_fmac_f32_e32 v47, 0x3f5db3d7, v43
	v_fmac_f32_e32 v27, 0xbf5db3d7, v43
	v_add_f32_e32 v43, v25, v59
	v_fmac_f32_e32 v25, -0.5, v48
	v_fmac_f32_e32 v4, 0x3f5db3d7, v17
	v_add_f32_e32 v7, v3, v65
	v_fmac_f32_e32 v3, -0.5, v13
	v_sub_f32_e32 v44, v44, v55
	v_mov_b32_e32 v48, v25
	v_add_f32_e32 v49, v72, v76
	v_sub_f32_e32 v13, v72, v76
	v_mov_b32_e32 v5, v3
	ds_write_b32 v97, v4 offset:64
	v_or_b32_e32 v4, v8, v106
	v_fmac_f32_e32 v48, 0x3f5db3d7, v44
	v_fmac_f32_e32 v25, 0xbf5db3d7, v44
	v_add_f32_e32 v44, v9, v72
	v_fmac_f32_e32 v9, -0.5, v49
	v_add_f32_e32 v7, v7, v79
	v_fmac_f32_e32 v5, 0xbf5db3d7, v13
	v_fmac_f32_e32 v3, 0x3f5db3d7, v13
	v_lshl_add_u32 v98, v4, 2, 0
	v_add_f32_e32 v66, v66, v56
	v_sub_f32_e32 v49, v65, v79
	v_mov_b32_e32 v54, v9
	ds_write2_b32 v98, v7, v5 offset1:8
	ds_write_b32 v98, v3 offset:64
	s_waitcnt lgkmcnt(0)
	; wave barrier
	s_waitcnt lgkmcnt(0)
	ds_read_b32 v21, v16
	ds_read_b32 v17, v26
	;; [unrolled: 1-line block ×9, first 2 shown]
	ds_read_b32 v5, v16 offset:5796
	ds_read2_b32 v[3:4], v34 offset0:177 offset1:240
	ds_read2_b32 v[84:85], v11 offset0:55 offset1:118
	ds_read2_b32 v[86:87], v30 offset0:47 offset1:110
	ds_read2_b32 v[88:89], v11 offset0:181 offset1:244
	ds_read2_b32 v[90:91], v30 offset0:173 offset1:236
	ds_read2_b32 v[92:93], v34 offset0:51 offset1:114
	ds_read2_b32 v[94:95], v38 offset0:43 offset1:106
	s_waitcnt lgkmcnt(0)
	; wave barrier
	s_waitcnt lgkmcnt(0)
	ds_write2_b32 v80, v83, v96 offset1:8
	ds_write_b32 v80, v78 offset:64
	v_add_f32_e32 v33, v33, v60
	v_add_f32_e32 v35, v35, v61
	;; [unrolled: 1-line block ×6, first 2 shown]
	v_fmac_f32_e32 v54, 0x3f5db3d7, v49
	v_fmac_f32_e32 v9, 0xbf5db3d7, v49
	ds_write2_b32 v82, v66, v41 offset1:8
	ds_write_b32 v82, v77 offset:64
	ds_write2_b32 v81, v33, v42 offset1:8
	ds_write_b32 v81, v32 offset:64
	;; [unrolled: 2-line block ×7, first 2 shown]
	v_mul_lo_u16_sdwa v25, v71, s0 dst_sel:DWORD dst_unused:UNUSED_PAD src0_sel:BYTE_0 src1_sel:DWORD
	v_lshrrev_b16_e32 v35, 12, v25
	v_mul_lo_u16_e32 v25, 24, v35
	v_mov_b32_e32 v9, 4
	v_sub_u16_e32 v37, v71, v25
	v_lshlrev_b32_sdwa v25, v9, v37 dst_sel:DWORD dst_unused:UNUSED_PAD src0_sel:DWORD src1_sel:BYTE_0
	s_waitcnt lgkmcnt(0)
	; wave barrier
	s_waitcnt lgkmcnt(0)
	global_load_dwordx4 v[42:45], v25, s[8:9] offset:176
	v_mul_lo_u16_sdwa v25, v70, s0 dst_sel:DWORD dst_unused:UNUSED_PAD src0_sel:BYTE_0 src1_sel:DWORD
	v_lshrrev_b16_e32 v39, 12, v25
	v_mul_lo_u16_e32 v25, 24, v39
	v_sub_u16_e32 v41, v70, v25
	v_lshlrev_b32_sdwa v25, v9, v41 dst_sel:DWORD dst_unused:UNUSED_PAD src0_sel:DWORD src1_sel:BYTE_0
	global_load_dwordx4 v[46:49], v25, s[8:9] offset:176
	v_mul_lo_u16_sdwa v25, v68, s0 dst_sel:DWORD dst_unused:UNUSED_PAD src0_sel:BYTE_0 src1_sel:DWORD
	v_lshrrev_b16_e32 v25, 12, v25
	v_mul_lo_u16_e32 v27, 24, v25
	v_sub_u16_e32 v29, v68, v27
	v_lshlrev_b32_sdwa v27, v9, v29 dst_sel:DWORD dst_unused:UNUSED_PAD src0_sel:DWORD src1_sel:BYTE_0
	global_load_dwordx4 v[54:57], v27, s[8:9] offset:176
	v_mul_u32_u24_sdwa v27, v52, s1 dst_sel:DWORD dst_unused:UNUSED_PAD src0_sel:WORD_0 src1_sel:DWORD
	v_lshrrev_b32_e32 v66, 20, v27
	v_mul_lo_u16_e32 v27, 24, v66
	v_sub_u16_e32 v101, v52, v27
	v_lshlrev_b32_e32 v27, 4, v101
	global_load_dwordx4 v[58:61], v27, s[8:9] offset:176
	v_mul_u32_u24_sdwa v27, v53, s1 dst_sel:DWORD dst_unused:UNUSED_PAD src0_sel:WORD_0 src1_sel:DWORD
	v_lshrrev_b32_e32 v102, 20, v27
	v_mul_lo_u16_e32 v27, 24, v102
	v_sub_u16_e32 v103, v53, v27
	v_lshlrev_b32_e32 v27, 4, v103
	;; [unrolled: 6-line block ×3, first 2 shown]
	global_load_dwordx4 v[72:75], v27, s[8:9] offset:176
	v_mul_lo_u16_sdwa v27, v67, s0 dst_sel:DWORD dst_unused:UNUSED_PAD src0_sel:BYTE_0 src1_sel:DWORD
	v_lshrrev_b16_e32 v106, 12, v27
	v_mul_lo_u16_e32 v27, 24, v106
	v_sub_u16_e32 v107, v67, v27
	v_lshlrev_b32_sdwa v27, v9, v107 dst_sel:DWORD dst_unused:UNUSED_PAD src0_sel:DWORD src1_sel:BYTE_0
	global_load_dwordx4 v[76:79], v27, s[8:9] offset:176
	v_mul_u32_u24_sdwa v27, v50, s1 dst_sel:DWORD dst_unused:UNUSED_PAD src0_sel:WORD_0 src1_sel:DWORD
	v_lshrrev_b32_e32 v108, 20, v27
	v_mul_lo_u16_e32 v27, 24, v108
	v_sub_u16_e32 v109, v50, v27
	v_lshlrev_b32_e32 v27, 4, v109
	global_load_dwordx4 v[80:83], v27, s[8:9] offset:176
	ds_read2_b32 v[31:32], v11 offset0:55 offset1:118
	ds_read2_b32 v[96:97], v30 offset0:47 offset1:110
	;; [unrolled: 1-line block ×3, first 2 shown]
	ds_read_b32 v33, v28
	v_cmp_gt_u32_e64 s[0:1], 9, v67
	s_waitcnt vmcnt(7) lgkmcnt(3)
	v_mul_f32_e32 v110, v31, v43
	v_mul_f32_e32 v27, v84, v43
	v_fmac_f32_e32 v110, v84, v42
	v_fma_f32 v84, v31, v42, -v27
	ds_read2_b32 v[42:43], v30 offset0:173 offset1:236
	s_waitcnt lgkmcnt(3)
	v_mul_f32_e32 v111, v96, v45
	v_mul_f32_e32 v27, v86, v45
	v_fmac_f32_e32 v111, v86, v44
	v_fma_f32 v44, v96, v44, -v27
	s_waitcnt vmcnt(6)
	v_mul_f32_e32 v45, v32, v47
	v_mul_f32_e32 v27, v85, v47
	v_fmac_f32_e32 v45, v85, v46
	v_fma_f32 v46, v32, v46, -v27
	v_mul_f32_e32 v27, v87, v49
	v_mul_f32_e32 v85, v97, v49
	v_fma_f32 v49, v97, v48, -v27
	s_waitcnt vmcnt(5) lgkmcnt(2)
	v_mul_f32_e32 v86, v98, v55
	v_mul_f32_e32 v27, v88, v55
	v_fmac_f32_e32 v86, v88, v54
	v_fma_f32 v54, v98, v54, -v27
	s_waitcnt lgkmcnt(0)
	v_mul_f32_e32 v55, v42, v57
	v_mul_f32_e32 v27, v90, v57
	v_fmac_f32_e32 v55, v90, v56
	v_fma_f32 v56, v42, v56, -v27
	s_waitcnt vmcnt(4)
	v_mul_f32_e32 v57, v99, v59
	v_mul_f32_e32 v27, v89, v59
	v_fmac_f32_e32 v57, v89, v58
	v_fma_f32 v58, v99, v58, -v27
	v_mul_f32_e32 v59, v43, v61
	ds_read2_b32 v[31:32], v34 offset0:51 offset1:114
	v_mul_f32_e32 v27, v91, v61
	v_fmac_f32_e32 v59, v91, v60
	v_fma_f32 v60, v43, v60, -v27
	ds_read2_b32 v[42:43], v38 offset0:43 offset1:106
	s_waitcnt vmcnt(3) lgkmcnt(1)
	v_mul_f32_e32 v61, v31, v63
	v_mul_f32_e32 v27, v92, v63
	v_fmac_f32_e32 v61, v92, v62
	v_fma_f32 v62, v31, v62, -v27
	s_waitcnt lgkmcnt(0)
	v_mul_f32_e32 v63, v42, v65
	v_mul_f32_e32 v27, v94, v65
	v_fmac_f32_e32 v63, v94, v64
	v_fma_f32 v42, v42, v64, -v27
	s_waitcnt vmcnt(2)
	v_mul_f32_e32 v64, v32, v73
	v_mul_f32_e32 v27, v93, v73
	v_fmac_f32_e32 v64, v93, v72
	v_fma_f32 v72, v32, v72, -v27
	v_mul_f32_e32 v27, v95, v75
	v_mul_f32_e32 v73, v43, v75
	v_fma_f32 v43, v43, v74, -v27
	ds_read_b32 v27, v6
	ds_read2_b32 v[31:32], v34 offset0:177 offset1:240
	v_fmac_f32_e32 v73, v95, v74
	v_fmac_f32_e32 v85, v87, v48
	s_waitcnt vmcnt(1)
	v_mul_f32_e32 v47, v33, v77
	v_mul_f32_e32 v48, v100, v77
	s_waitcnt lgkmcnt(0)
	v_mul_f32_e32 v65, v32, v79
	s_waitcnt vmcnt(0)
	v_mul_f32_e32 v74, v31, v81
	v_fmac_f32_e32 v65, v4, v78
	v_mul_f32_e32 v4, v4, v79
	v_fmac_f32_e32 v74, v3, v80
	;; [unrolled: 2-line block ×3, first 2 shown]
	v_fma_f32 v48, v33, v76, -v48
	v_fma_f32 v4, v32, v78, -v4
	v_fma_f32 v75, v31, v80, -v3
	ds_read_b32 v76, v16 offset:5796
	ds_read_b32 v33, v26
	ds_read_b32 v32, v18
	;; [unrolled: 1-line block ×7, first 2 shown]
	s_waitcnt lgkmcnt(7)
	v_mul_f32_e32 v80, v76, v83
	v_fmac_f32_e32 v80, v5, v82
	v_mul_f32_e32 v5, v5, v83
	v_fma_f32 v76, v76, v82, -v5
	v_add_f32_e32 v5, v47, v65
	v_add_f32_e32 v81, v21, v47
	v_fmac_f32_e32 v21, -0.5, v5
	v_mov_b32_e32 v5, 2
	v_mul_u32_u24_e32 v82, 0x120, v106
	v_lshlrev_b32_sdwa v83, v5, v107 dst_sel:DWORD dst_unused:UNUSED_PAD src0_sel:DWORD src1_sel:BYTE_0
	v_add3_u32 v82, 0, v82, v83
	v_sub_f32_e32 v83, v48, v4
	v_mov_b32_e32 v87, v21
	v_add_f32_e32 v81, v81, v65
	v_fmac_f32_e32 v87, 0xbf5db3d7, v83
	v_fmac_f32_e32 v21, 0x3f5db3d7, v83
	v_add_f32_e32 v83, v110, v111
	s_waitcnt lgkmcnt(0)
	; wave barrier
	s_waitcnt lgkmcnt(0)
	ds_write2_b32 v82, v81, v87 offset1:24
	v_add_f32_e32 v81, v23, v110
	v_fmac_f32_e32 v23, -0.5, v83
	ds_write_b32 v82, v21 offset:192
	v_mul_u32_u24_e32 v21, 0x120, v35
	v_lshlrev_b32_sdwa v35, v5, v37 dst_sel:DWORD dst_unused:UNUSED_PAD src0_sel:DWORD src1_sel:BYTE_0
	v_add3_u32 v35, 0, v21, v35
	v_add_f32_e32 v21, v81, v111
	v_sub_f32_e32 v37, v84, v44
	v_mov_b32_e32 v81, v23
	v_fmac_f32_e32 v81, 0xbf5db3d7, v37
	v_fmac_f32_e32 v23, 0x3f5db3d7, v37
	v_add_f32_e32 v37, v45, v85
	ds_write2_b32 v35, v21, v81 offset1:24
	v_add_f32_e32 v21, v19, v45
	v_fmac_f32_e32 v19, -0.5, v37
	ds_write_b32 v35, v23 offset:192
	v_mul_u32_u24_e32 v23, 0x120, v39
	v_lshlrev_b32_sdwa v37, v5, v41 dst_sel:DWORD dst_unused:UNUSED_PAD src0_sel:DWORD src1_sel:BYTE_0
	v_add3_u32 v37, 0, v23, v37
	v_sub_f32_e32 v23, v46, v49
	v_mov_b32_e32 v39, v19
	v_add_f32_e32 v21, v21, v85
	v_fmac_f32_e32 v39, 0xbf5db3d7, v23
	v_fmac_f32_e32 v19, 0x3f5db3d7, v23
	v_add_f32_e32 v23, v86, v55
	ds_write2_b32 v37, v21, v39 offset1:24
	v_add_f32_e32 v21, v17, v86
	v_fmac_f32_e32 v17, -0.5, v23
	ds_write_b32 v37, v19 offset:192
	v_mul_u32_u24_e32 v19, 0x120, v25
	v_lshlrev_b32_sdwa v23, v5, v29 dst_sel:DWORD dst_unused:UNUSED_PAD src0_sel:DWORD src1_sel:BYTE_0
	v_add3_u32 v39, 0, v19, v23
	v_add_f32_e32 v19, v21, v55
	v_sub_f32_e32 v21, v54, v56
	v_mov_b32_e32 v23, v17
	v_fmac_f32_e32 v23, 0xbf5db3d7, v21
	v_fmac_f32_e32 v17, 0x3f5db3d7, v21
	v_add_f32_e32 v21, v57, v59
	ds_write2_b32 v39, v19, v23 offset1:24
	v_add_f32_e32 v19, v15, v57
	v_fmac_f32_e32 v15, -0.5, v21
	ds_write_b32 v39, v17 offset:192
	v_mul_u32_u24_e32 v17, 0x120, v66
	v_lshlrev_b32_e32 v21, 2, v101
	v_add3_u32 v41, 0, v17, v21
	v_add_f32_e32 v17, v19, v59
	v_sub_f32_e32 v19, v58, v60
	v_mov_b32_e32 v21, v15
	v_fmac_f32_e32 v21, 0xbf5db3d7, v19
	v_fmac_f32_e32 v15, 0x3f5db3d7, v19
	v_add_f32_e32 v19, v61, v63
	ds_write2_b32 v41, v17, v21 offset1:24
	v_add_f32_e32 v17, v13, v61
	v_fmac_f32_e32 v13, -0.5, v19
	ds_write_b32 v41, v15 offset:192
	v_mul_u32_u24_e32 v15, 0x120, v102
	v_lshlrev_b32_e32 v19, 2, v103
	v_add3_u32 v81, 0, v15, v19
	v_add_f32_e32 v15, v17, v63
	v_sub_f32_e32 v17, v62, v42
	v_mov_b32_e32 v19, v13
	v_fmac_f32_e32 v19, 0xbf5db3d7, v17
	ds_write2_b32 v81, v15, v19 offset1:24
	v_add_f32_e32 v15, v79, v48
	v_add_f32_e32 v83, v15, v4
	;; [unrolled: 1-line block ×4, first 2 shown]
	v_fmac_f32_e32 v79, -0.5, v4
	v_add_f32_e32 v4, v8, v64
	v_fmac_f32_e32 v8, -0.5, v15
	v_fmac_f32_e32 v13, 0x3f5db3d7, v17
	v_sub_f32_e32 v15, v72, v43
	v_mov_b32_e32 v17, v8
	v_fmac_f32_e32 v17, 0xbf5db3d7, v15
	v_fmac_f32_e32 v8, 0x3f5db3d7, v15
	ds_write_b32 v81, v13 offset:192
	v_mul_u32_u24_e32 v13, 0x120, v104
	v_lshlrev_b32_e32 v15, 2, v105
	v_add3_u32 v88, 0, v13, v15
	v_add_f32_e32 v4, v4, v73
	v_add_f32_e32 v13, v74, v80
	ds_write2_b32 v88, v4, v17 offset1:24
	v_add_f32_e32 v4, v7, v74
	v_fmac_f32_e32 v7, -0.5, v13
	v_sub_f32_e32 v13, v75, v76
	v_mov_b32_e32 v15, v7
	v_sub_f32_e32 v87, v47, v65
	v_fmac_f32_e32 v15, 0xbf5db3d7, v13
	v_fmac_f32_e32 v7, 0x3f5db3d7, v13
	ds_write_b32 v88, v8 offset:192
	v_mul_u32_u24_e32 v8, 0x120, v108
	v_lshlrev_b32_e32 v13, 2, v109
	v_mov_b32_e32 v89, v79
	v_add_f32_e32 v4, v4, v80
	v_add3_u32 v90, 0, v8, v13
	v_fmac_f32_e32 v79, 0xbf5db3d7, v87
	ds_write2_b32 v90, v4, v15 offset1:24
	ds_write_b32 v90, v7 offset:192
	s_waitcnt lgkmcnt(0)
	; wave barrier
	s_waitcnt lgkmcnt(0)
	ds_read_b32 v25, v16
	ds_read_b32 v19, v26
	ds_read_b32 v17, v18
	ds_read_b32 v15, v22
	ds_read_b32 v13, v24
	ds_read_b32 v21, v20
	ds_read_b32 v23, v14
	ds_read_b32 v29, v16 offset:5796
	ds_read2_b32 v[7:8], v34 offset0:177 offset1:240
	ds_read2_b32 v[47:48], v11 offset0:55 offset1:118
	;; [unrolled: 1-line block ×7, first 2 shown]
	ds_read_b32 v100, v28
	ds_read_b32 v4, v6
	s_waitcnt lgkmcnt(0)
	; wave barrier
	s_waitcnt lgkmcnt(0)
	ds_write_b32 v82, v79 offset:192
	v_add_f32_e32 v79, v78, v84
	v_add_f32_e32 v79, v79, v44
	;; [unrolled: 1-line block ×3, first 2 shown]
	v_fmac_f32_e32 v89, 0x3f5db3d7, v87
	v_fmac_f32_e32 v78, -0.5, v44
	ds_write2_b32 v82, v83, v89 offset1:24
	v_sub_f32_e32 v44, v110, v111
	v_mov_b32_e32 v82, v78
	v_fmac_f32_e32 v82, 0x3f5db3d7, v44
	v_fmac_f32_e32 v78, 0xbf5db3d7, v44
	v_add_f32_e32 v44, v77, v46
	v_add_f32_e32 v46, v46, v49
	v_fmac_f32_e32 v77, -0.5, v46
	v_add_f32_e32 v44, v44, v49
	v_sub_f32_e32 v45, v45, v85
	v_mov_b32_e32 v46, v77
	v_add_f32_e32 v49, v54, v56
	v_fmac_f32_e32 v46, 0x3f5db3d7, v45
	v_fmac_f32_e32 v77, 0xbf5db3d7, v45
	v_add_f32_e32 v45, v33, v54
	v_fmac_f32_e32 v33, -0.5, v49
	v_sub_f32_e32 v49, v86, v55
	v_mov_b32_e32 v54, v33
	v_add_f32_e32 v55, v58, v60
	v_fmac_f32_e32 v54, 0x3f5db3d7, v49
	v_fmac_f32_e32 v33, 0xbf5db3d7, v49
	v_add_f32_e32 v49, v32, v58
	v_fmac_f32_e32 v32, -0.5, v55
	v_add_f32_e32 v45, v45, v56
	v_sub_f32_e32 v55, v57, v59
	v_mov_b32_e32 v56, v32
	v_fmac_f32_e32 v56, 0x3f5db3d7, v55
	v_fmac_f32_e32 v32, 0xbf5db3d7, v55
	v_add_f32_e32 v55, v31, v62
	v_add_f32_e32 v55, v55, v42
	;; [unrolled: 1-line block ×3, first 2 shown]
	v_fmac_f32_e32 v31, -0.5, v42
	v_sub_f32_e32 v42, v61, v63
	v_mov_b32_e32 v57, v31
	v_fmac_f32_e32 v57, 0x3f5db3d7, v42
	v_fmac_f32_e32 v31, 0xbf5db3d7, v42
	v_add_f32_e32 v42, v3, v72
	v_add_f32_e32 v42, v42, v43
	;; [unrolled: 1-line block ×3, first 2 shown]
	v_fmac_f32_e32 v3, -0.5, v43
	v_sub_f32_e32 v43, v64, v73
	v_mov_b32_e32 v58, v3
	v_add_f32_e32 v59, v75, v76
	v_fmac_f32_e32 v58, 0x3f5db3d7, v43
	v_fmac_f32_e32 v3, 0xbf5db3d7, v43
	v_add_f32_e32 v43, v27, v75
	v_fmac_f32_e32 v27, -0.5, v59
	v_add_f32_e32 v49, v49, v60
	v_sub_f32_e32 v59, v74, v80
	v_mov_b32_e32 v60, v27
	ds_write2_b32 v35, v79, v82 offset1:24
	v_add_f32_e32 v43, v43, v76
	v_fmac_f32_e32 v60, 0x3f5db3d7, v59
	v_fmac_f32_e32 v27, 0xbf5db3d7, v59
	ds_write_b32 v35, v78 offset:192
	ds_write2_b32 v37, v44, v46 offset1:24
	ds_write_b32 v37, v77 offset:192
	ds_write2_b32 v39, v45, v54 offset1:24
	;; [unrolled: 2-line block ×6, first 2 shown]
	ds_write_b32 v90, v27 offset:192
	v_mov_b32_e32 v3, 0
	v_lshlrev_b64 v[31:32], 3, v[2:3]
	v_add_u32_e32 v2, -9, v67
	v_cndmask_b32_e64 v101, v2, v71, s[0:1]
	v_lshlrev_b32_e32 v2, 1, v101
	v_lshlrev_b64 v[2:3], 3, v[2:3]
	v_mov_b32_e32 v27, s9
	v_add_co_u32_e64 v2, s[0:1], s8, v2
	v_addc_co_u32_e64 v3, s[0:1], v27, v3, s[0:1]
	s_waitcnt lgkmcnt(0)
	; wave barrier
	s_waitcnt lgkmcnt(0)
	global_load_dwordx4 v[43:46], v[2:3], off offset:560
	v_mov_b32_e32 v2, 57
	v_add_co_u32_e64 v31, s[0:1], s8, v31
	v_mul_lo_u16_sdwa v3, v70, v2 dst_sel:DWORD dst_unused:UNUSED_PAD src0_sel:BYTE_0 src1_sel:DWORD
	v_addc_co_u32_e64 v32, s[0:1], v27, v32, s[0:1]
	v_mul_u32_u24_sdwa v27, v50, s4 dst_sel:DWORD dst_unused:UNUSED_PAD src0_sel:WORD_0 src1_sel:DWORD
	v_lshrrev_b16_e32 v102, 12, v3
	v_lshrrev_b32_e32 v27, 22, v27
	v_mul_lo_u16_e32 v3, 0x48, v102
	v_mul_lo_u16_e32 v27, 0x48, v27
	v_sub_u16_e32 v103, v70, v3
	v_mul_lo_u16_sdwa v2, v68, v2 dst_sel:DWORD dst_unused:UNUSED_PAD src0_sel:BYTE_0 src1_sel:DWORD
	v_sub_u16_e32 v109, v50, v27
	v_lshlrev_b32_sdwa v3, v9, v103 dst_sel:DWORD dst_unused:UNUSED_PAD src0_sel:DWORD src1_sel:BYTE_0
	v_lshrrev_b16_e32 v2, 12, v2
	v_lshlrev_b32_e32 v27, 4, v109
	global_load_dwordx4 v[56:59], v3, s[8:9] offset:560
	global_load_dwordx4 v[88:91], v27, s[8:9] offset:560
	v_mul_lo_u16_e32 v3, 0x48, v2
	v_sub_u16_e32 v3, v68, v3
	v_lshlrev_b32_sdwa v9, v9, v3 dst_sel:DWORD dst_unused:UNUSED_PAD src0_sel:DWORD src1_sel:BYTE_0
	global_load_dwordx4 v[60:63], v9, s[8:9] offset:560
	global_load_dwordx4 v[84:87], v[31:32], off offset:560
	v_mul_u32_u24_sdwa v9, v52, s4 dst_sel:DWORD dst_unused:UNUSED_PAD src0_sel:WORD_0 src1_sel:DWORD
	v_lshrrev_b32_e32 v9, 22, v9
	v_mul_lo_u16_e32 v33, 0x48, v9
	v_sub_u16_e32 v104, v52, v33
	v_lshlrev_b32_e32 v33, 4, v104
	global_load_dwordx4 v[72:75], v33, s[8:9] offset:560
	v_mul_u32_u24_sdwa v33, v53, s4 dst_sel:DWORD dst_unused:UNUSED_PAD src0_sel:WORD_0 src1_sel:DWORD
	v_lshrrev_b32_e32 v105, 22, v33
	v_mul_lo_u16_e32 v33, 0x48, v105
	v_sub_u16_e32 v106, v53, v33
	v_lshlrev_b32_e32 v33, 4, v106
	global_load_dwordx4 v[76:79], v33, s[8:9] offset:560
	;; [unrolled: 6-line block ×3, first 2 shown]
	ds_read2_b32 v[31:32], v11 offset0:55 offset1:118
	ds_read2_b32 v[49:50], v30 offset0:47 offset1:110
	v_cmp_lt_u32_e64 s[0:1], 8, v67
	v_lshlrev_b32_sdwa v3, v5, v3 dst_sel:DWORD dst_unused:UNUSED_PAD src0_sel:DWORD src1_sel:BYTE_0
	v_mul_u32_u24_e32 v2, 0x360, v2
	v_mul_u32_u24_e32 v9, 0x360, v9
	s_waitcnt vmcnt(7) lgkmcnt(1)
	v_mul_f32_e32 v42, v31, v44
	v_mul_f32_e32 v27, v47, v44
	v_fmac_f32_e32 v42, v47, v43
	v_fma_f32 v55, v31, v43, -v27
	s_waitcnt lgkmcnt(0)
	v_mul_f32_e32 v52, v49, v46
	v_mul_f32_e32 v27, v65, v46
	ds_read2_b32 v[43:44], v11 offset0:181 offset1:244
	ds_read2_b32 v[46:47], v30 offset0:173 offset1:236
	v_fmac_f32_e32 v52, v65, v45
	v_fma_f32 v65, v49, v45, -v27
	s_waitcnt vmcnt(6)
	v_mul_f32_e32 v45, v32, v57
	v_mul_f32_e32 v27, v48, v57
	v_fmac_f32_e32 v45, v48, v56
	v_fma_f32 v56, v32, v56, -v27
	v_mul_f32_e32 v53, v50, v59
	v_mul_f32_e32 v27, v66, v59
	v_fmac_f32_e32 v53, v66, v58
	v_fma_f32 v66, v50, v58, -v27
	s_waitcnt vmcnt(4)
	v_mul_f32_e32 v27, v92, v61
	s_waitcnt lgkmcnt(1)
	v_fma_f32 v54, v43, v60, -v27
	v_mul_f32_e32 v27, v94, v63
	s_waitcnt lgkmcnt(0)
	v_fma_f32 v64, v46, v62, -v27
	s_waitcnt vmcnt(2)
	v_mul_f32_e32 v27, v93, v73
	ds_read2_b32 v[31:32], v34 offset0:51 offset1:114
	v_mul_f32_e32 v39, v43, v61
	v_mul_f32_e32 v35, v44, v73
	v_fma_f32 v50, v44, v72, -v27
	ds_read2_b32 v[43:44], v38 offset0:43 offset1:106
	v_mul_f32_e32 v27, v95, v75
	v_mul_f32_e32 v49, v46, v63
	v_fma_f32 v63, v47, v74, -v27
	s_waitcnt vmcnt(1)
	v_mul_f32_e32 v27, v96, v77
	s_waitcnt lgkmcnt(1)
	v_fma_f32 v51, v31, v76, -v27
	v_mul_f32_e32 v27, v98, v79
	s_waitcnt lgkmcnt(0)
	v_fma_f32 v61, v43, v78, -v27
	s_waitcnt vmcnt(0)
	v_mul_f32_e32 v27, v97, v81
	v_mul_f32_e32 v37, v31, v77
	v_fma_f32 v48, v32, v80, -v27
	ds_read_b32 v31, v28
	v_mul_f32_e32 v27, v99, v83
	v_fmac_f32_e32 v49, v94, v62
	v_fma_f32 v62, v44, v82, -v27
	ds_read_b32 v6, v6
	ds_read2_b32 v[27:28], v34 offset0:177 offset1:240
	v_fmac_f32_e32 v35, v93, v72
	v_mul_f32_e32 v33, v32, v81
	s_waitcnt lgkmcnt(2)
	v_mul_f32_e32 v72, v31, v85
	v_mul_f32_e32 v32, v100, v85
	v_fmac_f32_e32 v37, v96, v76
	v_fmac_f32_e32 v72, v100, v84
	v_fma_f32 v85, v31, v84, -v32
	s_waitcnt lgkmcnt(0)
	v_mul_f32_e32 v84, v28, v87
	v_mul_f32_e32 v76, v27, v89
	;; [unrolled: 1-line block ×5, first 2 shown]
	v_fmac_f32_e32 v84, v8, v86
	v_mul_f32_e32 v8, v8, v87
	v_fmac_f32_e32 v76, v7, v88
	v_mul_f32_e32 v7, v7, v89
	v_fmac_f32_e32 v46, v95, v74
	v_fmac_f32_e32 v47, v98, v78
	;; [unrolled: 1-line block ×4, first 2 shown]
	v_fma_f32 v86, v28, v86, -v8
	v_fma_f32 v79, v27, v88, -v7
	ds_read_b32 v7, v16 offset:5796
	ds_read_b32 v78, v26
	ds_read_b32 v77, v18
	;; [unrolled: 1-line block ×7, first 2 shown]
	s_waitcnt lgkmcnt(7)
	v_mul_f32_e32 v83, v7, v91
	v_mul_f32_e32 v8, v29, v91
	v_fmac_f32_e32 v83, v29, v90
	v_fma_f32 v29, v7, v90, -v8
	v_add_f32_e32 v8, v72, v84
	v_add_f32_e32 v7, v25, v72
	v_fmac_f32_e32 v25, -0.5, v8
	v_sub_f32_e32 v8, v85, v86
	v_mov_b32_e32 v18, v25
	v_fmac_f32_e32 v18, 0xbf5db3d7, v8
	v_fmac_f32_e32 v25, 0x3f5db3d7, v8
	v_add_f32_e32 v7, v7, v84
	v_add_f32_e32 v8, v42, v52
	s_waitcnt lgkmcnt(0)
	; wave barrier
	s_waitcnt lgkmcnt(0)
	ds_write2_b32 v16, v7, v18 offset1:72
	v_add_f32_e32 v7, v23, v42
	v_fmac_f32_e32 v23, -0.5, v8
	v_sub_f32_e32 v8, v55, v65
	v_mov_b32_e32 v18, v23
	v_add_f32_e32 v22, v45, v53
	v_fmac_f32_e32 v18, 0xbf5db3d7, v8
	v_fmac_f32_e32 v23, 0x3f5db3d7, v8
	v_add_f32_e32 v8, v21, v45
	v_fmac_f32_e32 v21, -0.5, v22
	v_mov_b32_e32 v22, 0x360
	v_cndmask_b32_e64 v22, 0, v22, s[0:1]
	v_lshlrev_b32_e32 v24, 2, v101
	v_fmac_f32_e32 v39, v92, v60
	v_add3_u32 v88, 0, v22, v24
	v_add_f32_e32 v7, v7, v52
	ds_write_b32 v16, v25 offset:576
	ds_write2_b32 v88, v7, v18 offset1:72
	v_sub_f32_e32 v7, v56, v66
	v_mov_b32_e32 v18, v21
	v_add_f32_e32 v22, v39, v49
	v_fmac_f32_e32 v18, 0xbf5db3d7, v7
	v_fmac_f32_e32 v21, 0x3f5db3d7, v7
	v_add_f32_e32 v7, v19, v39
	v_fmac_f32_e32 v19, -0.5, v22
	v_sub_f32_e32 v22, v54, v64
	v_mov_b32_e32 v24, v19
	v_add_f32_e32 v25, v35, v46
	v_fmac_f32_e32 v24, 0xbf5db3d7, v22
	v_fmac_f32_e32 v19, 0x3f5db3d7, v22
	v_add_f32_e32 v22, v17, v35
	v_fmac_f32_e32 v17, -0.5, v25
	ds_write_b32 v88, v23 offset:576
	v_mul_u32_u24_e32 v23, 0x360, v102
	v_lshlrev_b32_sdwa v25, v5, v103 dst_sel:DWORD dst_unused:UNUSED_PAD src0_sel:DWORD src1_sel:BYTE_0
	v_add3_u32 v89, 0, v23, v25
	v_add_f32_e32 v8, v8, v53
	v_add3_u32 v90, 0, v2, v3
	ds_write2_b32 v89, v8, v18 offset1:72
	v_sub_f32_e32 v8, v50, v63
	v_mov_b32_e32 v18, v17
	v_add_f32_e32 v23, v37, v47
	ds_write_b32 v89, v21 offset:576
	ds_write_b32 v90, v19 offset:576
	v_lshlrev_b32_e32 v19, 2, v104
	v_fmac_f32_e32 v18, 0xbf5db3d7, v8
	v_fmac_f32_e32 v17, 0x3f5db3d7, v8
	v_add_f32_e32 v8, v15, v37
	v_fmac_f32_e32 v15, -0.5, v23
	v_add_f32_e32 v2, v7, v49
	v_add_f32_e32 v5, v22, v46
	v_add3_u32 v91, 0, v9, v19
	v_sub_f32_e32 v23, v51, v61
	v_mov_b32_e32 v25, v15
	v_add_f32_e32 v26, v33, v41
	ds_write2_b32 v90, v2, v24 offset1:72
	ds_write2_b32 v91, v5, v18 offset1:72
	ds_write_b32 v91, v17 offset:576
	v_mul_u32_u24_e32 v5, 0x360, v105
	v_lshlrev_b32_e32 v9, 2, v106
	v_fmac_f32_e32 v25, 0xbf5db3d7, v23
	v_fmac_f32_e32 v15, 0x3f5db3d7, v23
	v_add_f32_e32 v23, v13, v33
	v_fmac_f32_e32 v13, -0.5, v26
	v_add_f32_e32 v7, v8, v47
	v_add_f32_e32 v3, v76, v83
	v_add3_u32 v92, 0, v5, v9
	v_sub_f32_e32 v26, v48, v62
	v_mov_b32_e32 v27, v13
	v_add_f32_e32 v2, v4, v76
	v_fmac_f32_e32 v4, -0.5, v3
	ds_write2_b32 v92, v7, v25 offset1:72
	ds_write_b32 v92, v15 offset:576
	v_mul_u32_u24_e32 v5, 0x360, v107
	v_lshlrev_b32_e32 v7, 2, v108
	v_fmac_f32_e32 v27, 0xbf5db3d7, v26
	v_fmac_f32_e32 v13, 0x3f5db3d7, v26
	v_add_f32_e32 v8, v23, v41
	v_sub_f32_e32 v21, v79, v29
	v_mov_b32_e32 v3, v4
	v_add3_u32 v15, 0, v5, v7
	v_lshl_add_u32 v93, v109, 2, 0
	v_add_f32_e32 v2, v2, v83
	v_fmac_f32_e32 v3, 0xbf5db3d7, v21
	ds_write2_b32 v15, v8, v27 offset1:72
	ds_write_b32 v15, v13 offset:576
	v_add_u32_e32 v94, 0x1400, v93
	v_add_u32_e32 v13, 0x400, v16
	v_fmac_f32_e32 v4, 0x3f5db3d7, v21
	ds_write2_b32 v94, v2, v3 offset0:16 offset1:88
	ds_write_b32 v93, v4 offset:5760
	s_waitcnt lgkmcnt(0)
	; wave barrier
	s_waitcnt lgkmcnt(0)
	ds_read2_b32 v[17:18], v16 offset1:216
	ds_read2_b32 v[21:22], v13 offset0:176 offset1:239
	ds_read2_b32 v[27:28], v11 offset0:46 offset1:136
	;; [unrolled: 1-line block ×4, first 2 shown]
	ds_read_b32 v19, v20
	ds_read_b32 v73, v14
	ds_read_b32 v87, v16 offset:5688
	ds_read2_b32 v[31:32], v38 offset0:16 offset1:79
	ds_read2_b32 v[59:60], v13 offset0:23 offset1:86
	;; [unrolled: 1-line block ×4, first 2 shown]
	v_sub_u32_e32 v5, 0, v40
	v_add_u32_e32 v40, v10, v5
	v_cmp_gt_u32_e64 s[0:1], 27, v67
                                        ; implicit-def: $vgpr8
                                        ; implicit-def: $vgpr10
	s_and_saveexec_b64 s[4:5], s[0:1]
	s_cbranch_execz .LBB0_15
; %bb.14:
	v_add_u32_e32 v5, 0xd00, v16
	v_add_u32_e32 v3, 0x600, v16
	ds_read2_b32 v[7:8], v5 offset0:5 offset1:221
	v_add_u32_e32 v5, 0x1380, v16
	ds_read_b32 v2, v40
	ds_read2_b32 v[3:4], v3 offset0:21 offset1:237
	ds_read2_b32 v[9:10], v5 offset0:21 offset1:237
.LBB0_15:
	s_or_b64 exec, exec, s[4:5]
	v_add_f32_e32 v5, v82, v85
	v_add_f32_e32 v95, v5, v86
	v_add_f32_e32 v5, v85, v86
	v_fmac_f32_e32 v82, -0.5, v5
	v_sub_f32_e32 v5, v72, v84
	v_mov_b32_e32 v84, v82
	v_fmac_f32_e32 v84, 0x3f5db3d7, v5
	v_fmac_f32_e32 v82, 0xbf5db3d7, v5
	v_add_f32_e32 v5, v81, v55
	v_add_f32_e32 v85, v5, v65
	v_add_f32_e32 v5, v55, v65
	v_fmac_f32_e32 v81, -0.5, v5
	v_sub_f32_e32 v5, v42, v52
	v_mov_b32_e32 v42, v81
	v_fmac_f32_e32 v42, 0x3f5db3d7, v5
	v_fmac_f32_e32 v81, 0xbf5db3d7, v5
	;; [unrolled: 8-line block ×8, first 2 shown]
	s_waitcnt lgkmcnt(0)
	; wave barrier
	s_waitcnt lgkmcnt(0)
	ds_write2_b32 v16, v95, v84 offset1:72
	ds_write_b32 v16, v82 offset:576
	ds_write2_b32 v88, v85, v42 offset1:72
	ds_write_b32 v88, v81 offset:576
	ds_write2_b32 v89, v52, v45 offset1:72
	ds_write_b32 v89, v80 offset:576
	ds_write2_b32 v90, v53, v39 offset1:72
	ds_write_b32 v90, v78 offset:576
	ds_write2_b32 v91, v49, v35 offset1:72
	ds_write_b32 v91, v77 offset:576
	ds_write2_b32 v92, v46, v37 offset1:72
	ds_write_b32 v92, v75 offset:576
	ds_write2_b32 v15, v47, v33 offset1:72
	ds_write_b32 v15, v74 offset:576
	ds_write2_b32 v94, v72, v5 offset0:16 offset1:88
	ds_write_b32 v93, v6 offset:5760
	s_waitcnt lgkmcnt(0)
	; wave barrier
	s_waitcnt lgkmcnt(0)
	ds_read2_b32 v[45:46], v16 offset1:216
	ds_read2_b32 v[47:48], v13 offset0:176 offset1:239
	ds_read2_b32 v[53:54], v11 offset0:46 offset1:136
	;; [unrolled: 1-line block ×8, first 2 shown]
	ds_read_b32 v20, v20
	ds_read_b32 v74, v14
	ds_read_b32 v29, v16 offset:5688
                                        ; implicit-def: $vgpr12
                                        ; implicit-def: $vgpr14
	s_and_saveexec_b64 s[4:5], s[0:1]
	s_cbranch_execz .LBB0_17
; %bb.16:
	v_add_u32_e32 v5, 0x600, v16
	v_add_u32_e32 v11, 0xd00, v16
	;; [unrolled: 1-line block ×3, first 2 shown]
	ds_read_b32 v72, v40
	ds_read2_b32 v[5:6], v5 offset0:21 offset1:237
	ds_read2_b32 v[11:12], v11 offset0:5 offset1:221
	;; [unrolled: 1-line block ×3, first 2 shown]
.LBB0_17:
	s_or_b64 exec, exec, s[4:5]
	s_and_saveexec_b64 s[4:5], vcc
	s_cbranch_execz .LBB0_20
; %bb.18:
	v_mul_i32_i24_e32 v15, 6, v70
	v_mov_b32_e32 v16, 0
	v_lshlrev_b64 v[33:34], 3, v[15:16]
	v_mov_b32_e32 v30, s9
	v_add_co_u32_e32 v41, vcc, s8, v33
	v_addc_co_u32_e32 v42, vcc, v30, v34, vcc
	global_load_dwordx4 v[33:36], v[41:42], off offset:1712
	global_load_dwordx4 v[37:40], v[41:42], off offset:1744
	;; [unrolled: 1-line block ×3, first 2 shown]
	v_mul_i32_i24_e32 v15, 6, v71
	v_lshlrev_b64 v[41:42], 3, v[15:16]
	s_mov_b32 s4, 0x3eae86e6
	v_add_co_u32_e32 v41, vcc, s8, v41
	v_addc_co_u32_e32 v42, vcc, v30, v42, vcc
	global_load_dwordx4 v[79:82], v[41:42], off offset:1712
	global_load_dwordx4 v[83:86], v[41:42], off offset:1744
	;; [unrolled: 1-line block ×3, first 2 shown]
	s_mov_b32 s5, 0xbf5ff5aa
	s_mov_b32 s6, 0xbf3bfb3b
	;; [unrolled: 1-line block ×3, first 2 shown]
	v_add_co_u32_e32 v0, vcc, s12, v0
	s_movk_i32 s12, 0x510
	s_waitcnt vmcnt(5) lgkmcnt(5)
	v_mul_f32_e32 v15, v66, v34
	s_waitcnt vmcnt(4) lgkmcnt(0)
	v_mul_f32_e32 v30, v29, v40
	s_waitcnt vmcnt(3)
	v_mul_f32_e32 v41, v49, v78
	v_mul_f32_e32 v42, v64, v76
	;; [unrolled: 1-line block ×10, first 2 shown]
	v_fmac_f32_e32 v15, v60, v33
	v_fmac_f32_e32 v30, v87, v39
	;; [unrolled: 1-line block ×6, first 2 shown]
	v_fma_f32 v23, v29, v39, -v40
	v_fma_f32 v27, v66, v33, -v34
	;; [unrolled: 1-line block ×6, first 2 shown]
	v_sub_f32_e32 v37, v15, v30
	v_sub_f32_e32 v36, v41, v42
	v_add_f32_e32 v39, v27, v23
	v_add_f32_e32 v44, v35, v34
	;; [unrolled: 1-line block ×5, first 2 shown]
	v_sub_f32_e32 v38, v70, v71
	v_add_f32_e32 v40, v33, v29
	v_add_f32_e32 v49, v39, v44
	v_sub_f32_e32 v58, v30, v41
	v_add_f32_e32 v60, v15, v41
	v_sub_f32_e32 v23, v27, v23
	v_sub_f32_e32 v27, v33, v29
	;; [unrolled: 1-line block ×5, first 2 shown]
	v_add_f32_e32 v35, v36, v38
	v_sub_f32_e32 v42, v39, v40
	v_sub_f32_e32 v36, v40, v44
	v_sub_f32_e32 v53, v15, v30
	v_add_f32_e32 v40, v40, v49
	v_mul_f32_e32 v58, 0x3d64c772, v58
	v_add_f32_e32 v30, v30, v60
	v_add_f32_e32 v66, v37, v35
	v_mul_f32_e32 v71, 0x3d64c772, v36
	v_add_f32_e32 v36, v20, v40
	v_mov_b32_e32 v20, v58
	v_add_f32_e32 v35, v19, v30
	v_sub_f32_e32 v64, v27, v29
	v_mul_f32_e32 v34, 0x3f08b237, v34
	v_mul_f32_e32 v49, 0x3f4a47b2, v53
	v_mov_b32_e32 v75, v71
	v_fmac_f32_e32 v20, 0x3f4a47b2, v53
	v_mov_b32_e32 v53, v35
	v_add_f32_e32 v19, v27, v29
	v_sub_f32_e32 v37, v38, v37
	v_sub_f32_e32 v62, v23, v27
	v_mul_f32_e32 v70, 0x3f4a47b2, v42
	v_mul_f32_e32 v60, 0x3f08b237, v64
	v_mov_b32_e32 v64, v34
	v_fmac_f32_e32 v75, 0x3f4a47b2, v42
	v_mov_b32_e32 v42, v36
	v_fmac_f32_e32 v53, 0xbf955555, v30
	v_add_f32_e32 v27, v23, v19
	v_mul_f32_e32 v30, 0xbf5ff5aa, v37
	v_sub_f32_e32 v23, v29, v23
	v_fmac_f32_e32 v64, 0xbeae86e6, v33
	v_fmac_f32_e32 v42, 0xbf955555, v40
	v_fma_f32 v40, v33, s4, -v30
	v_sub_f32_e32 v33, v44, v39
	v_sub_f32_e32 v15, v41, v15
	v_mul_f32_e32 v29, 0xbf5ff5aa, v23
	v_fma_f32 v30, v33, s6, -v70
	v_fma_f32 v38, v15, s6, -v49
	v_fma_f32 v44, v62, s4, -v29
	v_fma_f32 v33, v33, s7, -v71
	v_fma_f32 v37, v37, s5, -v34
	v_fma_f32 v23, v23, s5, -v60
	v_fma_f32 v15, v15, s7, -v58
	v_fmac_f32_e32 v40, 0xbee1c552, v66
	v_add_f32_e32 v39, v30, v42
	v_add_f32_e32 v41, v38, v53
	v_fmac_f32_e32 v44, 0xbee1c552, v27
	v_add_f32_e32 v38, v33, v42
	v_fmac_f32_e32 v37, 0xbee1c552, v66
	v_fmac_f32_e32 v23, 0xbee1c552, v27
	v_add_f32_e32 v15, v15, v53
	v_mov_b32_e32 v76, v60
	v_add_f32_e32 v77, v20, v53
	v_add_f32_e32 v30, v40, v39
	v_sub_f32_e32 v29, v41, v44
	v_sub_f32_e32 v34, v38, v37
	v_add_f32_e32 v33, v23, v15
	v_add_f32_e32 v38, v37, v38
	v_sub_f32_e32 v37, v15, v23
	v_sub_f32_e32 v40, v39, v40
	v_add_f32_e32 v39, v44, v41
	s_waitcnt vmcnt(2)
	v_mul_f32_e32 v15, v65, v80
	s_waitcnt vmcnt(1)
	v_mul_f32_e32 v44, v56, v86
	;; [unrolled: 2-line block ×3, first 2 shown]
	v_mul_f32_e32 v60, v63, v89
	v_mul_f32_e32 v70, v48, v82
	;; [unrolled: 1-line block ×3, first 2 shown]
	v_fmac_f32_e32 v15, v59, v79
	v_fmac_f32_e32 v44, v32, v85
	;; [unrolled: 1-line block ×7, first 2 shown]
	v_sub_f32_e32 v49, v15, v44
	v_sub_f32_e32 v23, v53, v60
	;; [unrolled: 1-line block ×3, first 2 shown]
	v_fmac_f32_e32 v64, 0xbee1c552, v66
	v_fmac_f32_e32 v76, 0xbee1c552, v27
	v_sub_f32_e32 v66, v49, v23
	v_sub_f32_e32 v27, v23, v87
	v_add_f32_e32 v23, v23, v87
	v_mul_f32_e32 v92, 0x3f08b237, v27
	v_add_f32_e32 v94, v49, v23
	v_mul_f32_e32 v23, v32, v86
	v_mul_u32_u24_e32 v27, 6, v67
	v_fma_f32 v32, v56, v85, -v23
	v_mul_f32_e32 v23, v59, v80
	v_lshlrev_b32_e32 v27, 3, v27
	v_fma_f32 v79, v65, v79, -v23
	v_mul_f32_e32 v23, v57, v89
	global_load_dwordx4 v[56:59], v27, s[8:9] offset:1712
	v_add_f32_e32 v75, v75, v42
	v_add_f32_e32 v20, v64, v75
	v_sub_f32_e32 v19, v77, v76
	v_sub_f32_e32 v42, v75, v64
	v_add_f32_e32 v41, v76, v77
	global_load_dwordx4 v[75:78], v27, s[8:9] offset:1728
	v_fma_f32 v85, v63, v88, -v23
	global_load_dwordx4 v[62:65], v27, s[8:9] offset:1744
	v_mul_f32_e32 v23, v26, v91
	v_mul_f32_e32 v43, v43, v84
	;; [unrolled: 1-line block ×3, first 2 shown]
	v_fma_f32 v26, v52, v90, -v23
	v_fma_f32 v43, v61, v83, -v43
	;; [unrolled: 1-line block ×3, first 2 shown]
	v_add_f32_e32 v80, v79, v32
	v_add_f32_e32 v23, v26, v85
	;; [unrolled: 1-line block ×3, first 2 shown]
	v_sub_f32_e32 v22, v23, v61
	v_add_f32_e32 v27, v80, v61
	v_mul_f32_e32 v81, 0x3d64c772, v22
	v_add_f32_e32 v27, v23, v27
	v_sub_f32_e32 v52, v80, v23
	v_mov_b32_e32 v22, v81
	v_add_f32_e32 v23, v74, v27
	v_mul_f32_e32 v86, 0x3f4a47b2, v52
	v_fmac_f32_e32 v22, 0x3f4a47b2, v52
	v_mov_b32_e32 v52, v23
	v_fmac_f32_e32 v52, 0xbf955555, v27
	v_add_f32_e32 v74, v22, v52
	v_add_f32_e32 v22, v53, v60
	;; [unrolled: 1-line block ×3, first 2 shown]
	v_sub_f32_e32 v70, v22, v60
	v_add_f32_e32 v15, v15, v44
	v_mul_f32_e32 v70, 0x3d64c772, v70
	v_sub_f32_e32 v44, v15, v22
	v_mov_b32_e32 v71, v70
	v_mul_f32_e32 v53, 0x3f4a47b2, v44
	v_fmac_f32_e32 v71, 0x3f4a47b2, v44
	v_add_f32_e32 v44, v15, v60
	v_add_f32_e32 v44, v22, v44
	;; [unrolled: 1-line block ×3, first 2 shown]
	v_mov_b32_e32 v73, v22
	v_sub_f32_e32 v26, v26, v85
	v_sub_f32_e32 v43, v48, v43
	v_fmac_f32_e32 v73, 0xbf955555, v44
	v_sub_f32_e32 v32, v79, v32
	v_sub_f32_e32 v44, v26, v43
	;; [unrolled: 1-line block ×4, first 2 shown]
	v_mov_b32_e32 v93, v92
	v_add_f32_e32 v82, v71, v73
	v_sub_f32_e32 v71, v32, v26
	v_mul_f32_e32 v48, 0x3f08b237, v44
	v_add_f32_e32 v26, v26, v43
	v_mul_f32_e32 v44, 0xbf5ff5aa, v49
	v_sub_f32_e32 v61, v61, v80
	v_fma_f32 v53, v15, s6, -v53
	v_fmac_f32_e32 v93, 0xbeae86e6, v66
	v_add_f32_e32 v83, v32, v26
	v_fma_f32 v66, v66, s4, -v44
	v_fma_f32 v44, v61, s6, -v86
	v_add_f32_e32 v60, v53, v73
	v_sub_f32_e32 v32, v43, v32
	v_fma_f32 v53, v61, s7, -v81
	v_add_f32_e32 v80, v44, v52
	v_mul_f32_e32 v43, 0xbf5ff5aa, v32
	v_add_f32_e32 v52, v53, v52
	v_fma_f32 v53, v49, s5, -v92
	v_fma_f32 v32, v32, s5, -v48
	;; [unrolled: 1-line block ×3, first 2 shown]
	v_mov_b32_e32 v79, v48
	v_fmac_f32_e32 v53, 0xbee1c552, v94
	v_fmac_f32_e32 v32, 0xbee1c552, v83
	v_add_f32_e32 v15, v15, v73
	v_fmac_f32_e32 v79, 0xbeae86e6, v71
	v_fma_f32 v71, v71, s4, -v43
	v_sub_f32_e32 v49, v52, v53
	v_add_f32_e32 v48, v32, v15
	v_add_f32_e32 v53, v53, v52
	v_sub_f32_e32 v52, v15, v32
	s_waitcnt vmcnt(2)
	v_mul_f32_e32 v15, v46, v57
	v_fmac_f32_e32 v93, 0xbee1c552, v94
	v_fmac_f32_e32 v79, 0xbee1c552, v83
	;; [unrolled: 1-line block ×4, first 2 shown]
	v_mul_f32_e32 v18, v18, v57
	v_add_f32_e32 v27, v93, v74
	v_sub_f32_e32 v26, v82, v79
	v_sub_f32_e32 v43, v60, v71
	v_add_f32_e32 v60, v71, v60
	v_sub_f32_e32 v71, v74, v93
	v_add_f32_e32 v70, v79, v82
	s_waitcnt vmcnt(1)
	v_mul_f32_e32 v74, v54, v76
	v_mul_f32_e32 v81, v47, v59
	s_waitcnt vmcnt(0)
	v_mul_f32_e32 v82, v50, v63
	v_fma_f32 v46, v46, v56, -v18
	v_mul_f32_e32 v18, v28, v76
	v_fmac_f32_e32 v74, v28, v75
	v_fmac_f32_e32 v81, v21, v58
	;; [unrolled: 1-line block ×3, first 2 shown]
	v_fma_f32 v28, v54, v75, -v18
	v_mul_f32_e32 v18, v25, v78
	v_mul_f32_e32 v24, v24, v63
	;; [unrolled: 1-line block ×5, first 2 shown]
	v_fma_f32 v51, v51, v77, -v18
	v_fma_f32 v24, v50, v62, -v24
	;; [unrolled: 1-line block ×3, first 2 shown]
	v_fmac_f32_e32 v32, v31, v64
	v_mul_f32_e32 v31, v31, v65
	v_add_f32_e32 v18, v51, v28
	v_add_f32_e32 v47, v21, v24
	v_fma_f32 v31, v55, v64, -v31
	v_sub_f32_e32 v50, v18, v47
	v_add_f32_e32 v55, v46, v31
	v_mul_f32_e32 v50, 0x3d64c772, v50
	v_fmac_f32_e32 v73, v25, v77
	v_sub_f32_e32 v25, v55, v18
	v_mov_b32_e32 v56, v50
	v_mul_f32_e32 v54, 0x3f4a47b2, v25
	v_fmac_f32_e32 v56, 0x3f4a47b2, v25
	v_add_f32_e32 v25, v55, v47
	v_fmac_f32_e32 v66, 0xbee1c552, v94
	v_add_f32_e32 v25, v18, v25
	v_add_f32_e32 v44, v66, v80
	v_sub_f32_e32 v61, v80, v66
	v_sub_f32_e32 v66, v15, v32
	v_add_f32_e32 v18, v45, v25
	v_add_f32_e32 v15, v15, v32
	;; [unrolled: 1-line block ×4, first 2 shown]
	v_mov_b32_e32 v45, v18
	v_sub_f32_e32 v59, v32, v58
	v_fmac_f32_e32 v45, 0xbf955555, v25
	v_mul_f32_e32 v59, 0x3d64c772, v59
	v_add_f32_e32 v62, v56, v45
	v_sub_f32_e32 v56, v15, v32
	v_mov_b32_e32 v63, v59
	v_mul_f32_e32 v57, 0x3f4a47b2, v56
	v_fmac_f32_e32 v63, 0x3f4a47b2, v56
	v_add_f32_e32 v56, v15, v58
	v_add_f32_e32 v32, v32, v56
	;; [unrolled: 1-line block ×3, first 2 shown]
	v_sub_f32_e32 v28, v51, v28
	v_sub_f32_e32 v21, v21, v24
	v_mov_b32_e32 v56, v17
	v_sub_f32_e32 v31, v46, v31
	v_sub_f32_e32 v24, v28, v21
	;; [unrolled: 1-line block ×3, first 2 shown]
	v_fmac_f32_e32 v56, 0xbf955555, v32
	v_mul_f32_e32 v51, 0x3f08b237, v24
	v_add_f32_e32 v24, v28, v21
	v_sub_f32_e32 v21, v21, v31
	v_sub_f32_e32 v79, v73, v74
	v_add_f32_e32 v64, v63, v56
	v_sub_f32_e32 v46, v31, v28
	v_mov_b32_e32 v65, v51
	v_add_f32_e32 v28, v31, v24
	v_sub_f32_e32 v63, v83, v66
	v_sub_f32_e32 v47, v47, v55
	v_mul_f32_e32 v31, 0xbf5ff5aa, v21
	v_sub_f32_e32 v80, v66, v79
	v_sub_f32_e32 v84, v79, v83
	v_add_f32_e32 v79, v79, v83
	v_fmac_f32_e32 v65, 0xbeae86e6, v46
	v_mul_f32_e32 v32, 0xbf5ff5aa, v63
	v_sub_f32_e32 v15, v58, v15
	v_fma_f32 v75, v46, s4, -v31
	v_fma_f32 v46, v47, s7, -v50
	;; [unrolled: 1-line block ×3, first 2 shown]
	v_mad_u64_u32 v[50:51], s[10:11], s2, v67, 0
	v_mul_f32_e32 v84, 0x3f08b237, v84
	v_add_f32_e32 v79, v66, v79
	v_fma_f32 v66, v80, s4, -v32
	v_fma_f32 v32, v47, s6, -v54
	;; [unrolled: 1-line block ×3, first 2 shown]
	v_add_f32_e32 v74, v54, v56
	v_fma_f32 v54, v63, s5, -v84
	v_fma_f32 v15, v15, s7, -v59
	v_add_f32_e32 v47, v46, v45
	v_fmac_f32_e32 v54, 0xbee1c552, v79
	v_fmac_f32_e32 v21, 0xbee1c552, v28
	v_add_f32_e32 v15, v15, v56
	v_add_f32_e32 v73, v32, v45
	v_sub_f32_e32 v46, v47, v54
	v_add_f32_e32 v45, v21, v15
	v_add_f32_e32 v55, v54, v47
	v_sub_f32_e32 v54, v15, v21
	v_mov_b32_e32 v15, v51
	v_mad_u64_u32 v[58:59], s[10:11], s3, v67, v[15:16]
	v_add_u32_e32 v21, 0xd8, v67
	v_mov_b32_e32 v85, v84
	v_mov_b32_e32 v51, v58
	v_mad_u64_u32 v[58:59], s[10:11], s2, v21, 0
	v_fmac_f32_e32 v85, 0xbeae86e6, v80
	v_mov_b32_e32 v15, s13
	v_fmac_f32_e32 v85, 0xbee1c552, v79
	v_fmac_f32_e32 v65, 0xbee1c552, v28
	v_addc_co_u32_e32 v1, vcc, v15, v1, vcc
	v_mov_b32_e32 v15, v59
	v_add_f32_e32 v25, v85, v62
	v_sub_f32_e32 v24, v64, v65
	v_fmac_f32_e32 v66, 0xbee1c552, v79
	v_sub_f32_e32 v63, v62, v85
	v_add_f32_e32 v62, v65, v64
	v_mad_u64_u32 v[64:65], s[10:11], s3, v21, v[15:16]
	v_add_u32_e32 v21, 0x1b0, v67
	v_add_f32_e32 v32, v66, v73
	v_sub_f32_e32 v57, v73, v66
	v_mad_u64_u32 v[65:66], s[10:11], s2, v21, 0
	v_lshlrev_b64 v[50:51], 3, v[50:51]
	v_mov_b32_e32 v59, v64
	v_add_co_u32_e32 v50, vcc, v0, v50
	v_addc_co_u32_e32 v51, vcc, v1, v51, vcc
	v_mov_b32_e32 v15, v66
	global_store_dwordx2 v[50:51], v[17:18], off
	v_mad_u64_u32 v[50:51], s[10:11], s3, v21, v[15:16]
	v_add_u32_e32 v21, 0x288, v67
	v_lshlrev_b64 v[17:18], 3, v[58:59]
	v_mov_b32_e32 v66, v50
	v_mad_u64_u32 v[50:51], s[10:11], s2, v21, 0
	v_add_co_u32_e32 v17, vcc, v0, v17
	v_mov_b32_e32 v15, v51
	v_addc_co_u32_e32 v18, vcc, v1, v18, vcc
	v_mad_u64_u32 v[58:59], s[10:11], s3, v21, v[15:16]
	v_add_u32_e32 v21, 0x360, v67
	global_store_dwordx2 v[17:18], v[62:63], off
	v_mad_u64_u32 v[62:63], s[10:11], s2, v21, 0
	v_lshlrev_b64 v[17:18], 3, v[65:66]
	v_fmac_f32_e32 v75, 0xbee1c552, v28
	v_add_co_u32_e32 v17, vcc, v0, v17
	v_add_f32_e32 v56, v75, v74
	v_addc_co_u32_e32 v18, vcc, v1, v18, vcc
	v_mov_b32_e32 v51, v58
	v_mov_b32_e32 v15, v63
	global_store_dwordx2 v[17:18], v[56:57], off
	v_lshlrev_b64 v[17:18], 3, v[50:51]
	v_mad_u64_u32 v[50:51], s[10:11], s3, v21, v[15:16]
	v_add_u32_e32 v21, 0x438, v67
	v_add_co_u32_e32 v17, vcc, v0, v17
	v_mov_b32_e32 v63, v50
	v_mad_u64_u32 v[50:51], s[10:11], s2, v21, 0
	v_addc_co_u32_e32 v18, vcc, v1, v18, vcc
	v_mov_b32_e32 v15, v51
	global_store_dwordx2 v[17:18], v[54:55], off
	v_mad_u64_u32 v[54:55], s[10:11], s3, v21, v[15:16]
	v_lshlrev_b64 v[17:18], 3, v[62:63]
	v_add_u32_e32 v21, 0x510, v67
	v_add_co_u32_e32 v17, vcc, v0, v17
	v_addc_co_u32_e32 v18, vcc, v1, v18, vcc
	v_mov_b32_e32 v51, v54
	v_mad_u64_u32 v[55:56], s[10:11], s2, v21, 0
	global_store_dwordx2 v[17:18], v[45:46], off
	v_lshlrev_b64 v[17:18], 3, v[50:51]
	v_sub_f32_e32 v31, v74, v75
	v_add_co_u32_e32 v17, vcc, v0, v17
	v_addc_co_u32_e32 v18, vcc, v1, v18, vcc
	v_mov_b32_e32 v15, v56
	global_store_dwordx2 v[17:18], v[31:32], off
	v_mad_u64_u32 v[31:32], s[10:11], s2, v69, 0
	v_mad_u64_u32 v[45:46], s[10:11], s3, v21, v[15:16]
	v_mov_b32_e32 v15, v32
	v_add_u32_e32 v21, 0x117, v67
	v_mov_b32_e32 v56, v45
	v_mad_u64_u32 v[45:46], s[10:11], s3, v69, v[15:16]
	v_lshlrev_b64 v[17:18], 3, v[55:56]
	v_mad_u64_u32 v[46:47], s[10:11], s2, v21, 0
	v_add_co_u32_e32 v17, vcc, v0, v17
	v_addc_co_u32_e32 v18, vcc, v1, v18, vcc
	v_mov_b32_e32 v32, v45
	global_store_dwordx2 v[17:18], v[24:25], off
	v_lshlrev_b64 v[17:18], 3, v[31:32]
	v_mov_b32_e32 v15, v47
	v_add_co_u32_e32 v17, vcc, v0, v17
	v_addc_co_u32_e32 v18, vcc, v1, v18, vcc
	global_store_dwordx2 v[17:18], v[22:23], off
	v_add_u32_e32 v23, 0x1ef, v67
	v_mad_u64_u32 v[24:25], s[10:11], s3, v21, v[15:16]
	v_mad_u64_u32 v[21:22], s[10:11], s2, v23, 0
	v_add_u32_e32 v25, 0x2c7, v67
	v_mov_b32_e32 v47, v24
	v_mov_b32_e32 v15, v22
	v_mad_u64_u32 v[22:23], s[10:11], s3, v23, v[15:16]
	v_mad_u64_u32 v[23:24], s[10:11], s2, v25, 0
	v_lshlrev_b64 v[17:18], 3, v[46:47]
	v_add_co_u32_e32 v17, vcc, v0, v17
	v_addc_co_u32_e32 v18, vcc, v1, v18, vcc
	v_mov_b32_e32 v15, v24
	global_store_dwordx2 v[17:18], v[70:71], off
	v_lshlrev_b64 v[17:18], 3, v[21:22]
	v_mad_u64_u32 v[21:22], s[10:11], s3, v25, v[15:16]
	v_add_co_u32_e32 v17, vcc, v0, v17
	v_addc_co_u32_e32 v18, vcc, v1, v18, vcc
	v_mov_b32_e32 v24, v21
	global_store_dwordx2 v[17:18], v[60:61], off
	v_lshlrev_b64 v[17:18], 3, v[23:24]
	v_add_u32_e32 v23, 0x39f, v67
	v_mad_u64_u32 v[21:22], s[10:11], s2, v23, 0
	v_add_u32_e32 v25, 0x477, v67
	v_add_co_u32_e32 v17, vcc, v0, v17
	v_mov_b32_e32 v15, v22
	v_mad_u64_u32 v[22:23], s[10:11], s3, v23, v[15:16]
	v_mad_u64_u32 v[23:24], s[10:11], s2, v25, 0
	v_addc_co_u32_e32 v18, vcc, v1, v18, vcc
	v_mov_b32_e32 v15, v24
	global_store_dwordx2 v[17:18], v[52:53], off
	v_lshlrev_b64 v[17:18], 3, v[21:22]
	v_mad_u64_u32 v[21:22], s[10:11], s3, v25, v[15:16]
	v_add_co_u32_e32 v17, vcc, v0, v17
	v_addc_co_u32_e32 v18, vcc, v1, v18, vcc
	v_mov_b32_e32 v24, v21
	global_store_dwordx2 v[17:18], v[48:49], off
	v_lshlrev_b64 v[17:18], 3, v[23:24]
	v_add_u32_e32 v23, 0x54f, v67
	v_mad_u64_u32 v[21:22], s[10:11], s2, v23, 0
	v_add_u32_e32 v24, 0x7e, v67
	v_lshrrev_b32_e32 v15, 3, v24
	s_mov_b32 s10, 0x97b425f
	v_mul_hi_u32 v25, v15, s10
	v_mov_b32_e32 v15, v22
	v_mad_u64_u32 v[22:23], s[10:11], s3, v23, v[15:16]
	v_mad_u32_u24 v25, v25, s12, v24
	v_mad_u64_u32 v[23:24], s[10:11], s2, v25, 0
	v_add_co_u32_e32 v17, vcc, v0, v17
	v_addc_co_u32_e32 v18, vcc, v1, v18, vcc
	v_mov_b32_e32 v15, v24
	global_store_dwordx2 v[17:18], v[43:44], off
	v_lshlrev_b64 v[17:18], 3, v[21:22]
	v_mad_u64_u32 v[21:22], s[10:11], s3, v25, v[15:16]
	v_add_co_u32_e32 v17, vcc, v0, v17
	v_addc_co_u32_e32 v18, vcc, v1, v18, vcc
	v_mov_b32_e32 v24, v21
	global_store_dwordx2 v[17:18], v[26:27], off
	v_lshlrev_b64 v[17:18], 3, v[23:24]
	v_add_u32_e32 v23, 0xd8, v25
	v_mad_u64_u32 v[21:22], s[10:11], s2, v23, 0
	v_add_u32_e32 v26, 0x1b0, v25
	v_add_co_u32_e32 v17, vcc, v0, v17
	v_mov_b32_e32 v15, v22
	v_mad_u64_u32 v[22:23], s[10:11], s3, v23, v[15:16]
	v_mad_u64_u32 v[23:24], s[10:11], s2, v26, 0
	v_addc_co_u32_e32 v18, vcc, v1, v18, vcc
	v_mov_b32_e32 v15, v24
	global_store_dwordx2 v[17:18], v[35:36], off
	v_lshlrev_b64 v[17:18], 3, v[21:22]
	v_mad_u64_u32 v[21:22], s[10:11], s3, v26, v[15:16]
	v_add_co_u32_e32 v17, vcc, v0, v17
	v_addc_co_u32_e32 v18, vcc, v1, v18, vcc
	v_mov_b32_e32 v24, v21
	global_store_dwordx2 v[17:18], v[41:42], off
	v_lshlrev_b64 v[17:18], 3, v[23:24]
	v_add_u32_e32 v23, 0x288, v25
	v_mad_u64_u32 v[21:22], s[10:11], s2, v23, 0
	v_add_u32_e32 v26, 0x360, v25
	v_add_co_u32_e32 v17, vcc, v0, v17
	v_mov_b32_e32 v15, v22
	v_mad_u64_u32 v[22:23], s[10:11], s3, v23, v[15:16]
	v_mad_u64_u32 v[23:24], s[10:11], s2, v26, 0
	;; [unrolled: 17-line block ×3, first 2 shown]
	v_addc_co_u32_e32 v18, vcc, v1, v18, vcc
	v_mov_b32_e32 v15, v24
	global_store_dwordx2 v[17:18], v[33:34], off
	v_lshlrev_b64 v[17:18], 3, v[21:22]
	v_mad_u64_u32 v[21:22], s[10:11], s3, v25, v[15:16]
	v_add_co_u32_e32 v17, vcc, v0, v17
	v_addc_co_u32_e32 v18, vcc, v1, v18, vcc
	v_mov_b32_e32 v24, v21
	global_store_dwordx2 v[17:18], v[29:30], off
	v_lshlrev_b64 v[17:18], 3, v[23:24]
	v_add_co_u32_e32 v17, vcc, v0, v17
	v_addc_co_u32_e32 v18, vcc, v1, v18, vcc
	global_store_dwordx2 v[17:18], v[19:20], off
	s_and_b64 exec, exec, s[0:1]
	s_cbranch_execz .LBB0_20
; %bb.19:
	v_subrev_u32_e32 v15, 27, v67
	v_cndmask_b32_e64 v15, v15, v68, s[0:1]
	v_mul_i32_i24_e32 v15, 6, v15
	v_lshlrev_b64 v[15:16], 3, v[15:16]
	v_mov_b32_e32 v17, s9
	v_add_co_u32_e32 v27, vcc, s8, v15
	v_addc_co_u32_e32 v28, vcc, v17, v16, vcc
	global_load_dwordx4 v[15:18], v[27:28], off offset:1712
	global_load_dwordx4 v[19:22], v[27:28], off offset:1728
	;; [unrolled: 1-line block ×3, first 2 shown]
	s_waitcnt vmcnt(2)
	v_mul_f32_e32 v27, v5, v16
	v_mul_f32_e32 v16, v3, v16
	;; [unrolled: 1-line block ×4, first 2 shown]
	s_waitcnt vmcnt(1)
	v_mul_f32_e32 v29, v11, v20
	v_mul_f32_e32 v30, v12, v22
	s_waitcnt vmcnt(0)
	v_mul_f32_e32 v31, v13, v24
	v_mul_f32_e32 v24, v9, v24
	;; [unrolled: 1-line block ×6, first 2 shown]
	v_fmac_f32_e32 v27, v3, v15
	v_fma_f32 v3, v5, v15, -v16
	v_fmac_f32_e32 v28, v4, v17
	v_fma_f32 v4, v6, v17, -v18
	v_fmac_f32_e32 v29, v7, v19
	v_fmac_f32_e32 v30, v8, v21
	;; [unrolled: 1-line block ×3, first 2 shown]
	v_fma_f32 v7, v13, v23, -v24
	v_fmac_f32_e32 v32, v10, v25
	v_fma_f32 v8, v14, v25, -v26
	v_fma_f32 v5, v11, v19, -v20
	;; [unrolled: 1-line block ×3, first 2 shown]
	v_add_f32_e32 v9, v27, v32
	v_add_f32_e32 v10, v3, v8
	v_sub_f32_e32 v3, v3, v8
	v_add_f32_e32 v8, v28, v31
	v_add_f32_e32 v12, v4, v7
	v_sub_f32_e32 v13, v28, v31
	v_sub_f32_e32 v4, v4, v7
	v_add_f32_e32 v7, v29, v30
	v_add_f32_e32 v14, v5, v6
	v_sub_f32_e32 v15, v30, v29
	;; [unrolled: 4-line block ×3, first 2 shown]
	v_sub_f32_e32 v17, v8, v9
	v_sub_f32_e32 v18, v12, v10
	;; [unrolled: 1-line block ×6, first 2 shown]
	v_add_f32_e32 v19, v15, v13
	v_add_f32_e32 v20, v5, v4
	v_sub_f32_e32 v21, v15, v13
	v_sub_f32_e32 v22, v5, v4
	;; [unrolled: 1-line block ×3, first 2 shown]
	v_add_f32_e32 v6, v7, v6
	v_add_f32_e32 v7, v14, v16
	v_sub_f32_e32 v15, v11, v15
	v_sub_f32_e32 v5, v3, v5
	;; [unrolled: 1-line block ×3, first 2 shown]
	v_add_f32_e32 v11, v19, v11
	v_add_f32_e32 v14, v20, v3
	v_mul_f32_e32 v9, 0x3f4a47b2, v9
	v_mul_f32_e32 v10, 0x3f4a47b2, v10
	;; [unrolled: 1-line block ×7, first 2 shown]
	v_add_f32_e32 v3, v72, v7
	v_mul_f32_e32 v22, 0xbf5ff5aa, v13
	v_fma_f32 v16, v17, s7, -v16
	v_fma_f32 v19, v18, s7, -v19
	;; [unrolled: 1-line block ×3, first 2 shown]
	v_fmac_f32_e32 v9, 0x3d64c772, v8
	v_fma_f32 v8, v18, s6, -v10
	v_fmac_f32_e32 v10, 0x3d64c772, v12
	v_fma_f32 v12, v4, s5, -v21
	;; [unrolled: 2-line block ×3, first 2 shown]
	v_mov_b32_e32 v5, v3
	v_add_f32_e32 v2, v2, v6
	v_fma_f32 v13, v13, s5, -v20
	v_fmac_f32_e32 v20, 0xbeae86e6, v15
	v_fma_f32 v15, v15, s4, -v22
	v_fmac_f32_e32 v5, 0xbf955555, v7
	v_add_u32_e32 v25, 0xbd, v67
	v_mov_b32_e32 v4, v2
	v_add_f32_e32 v23, v10, v5
	v_fmac_f32_e32 v20, 0xbee1c552, v11
	v_fmac_f32_e32 v13, 0xbee1c552, v11
	;; [unrolled: 1-line block ×3, first 2 shown]
	v_mad_u64_u32 v[10:11], s[0:1], s2, v25, 0
	v_fmac_f32_e32 v4, 0xbf955555, v6
	v_add_f32_e32 v16, v16, v4
	v_fmac_f32_e32 v12, 0xbee1c552, v14
	v_add_f32_e32 v17, v17, v4
	v_add_f32_e32 v24, v8, v5
	v_fmac_f32_e32 v18, 0xbee1c552, v14
	v_sub_f32_e32 v8, v16, v12
	v_add_f32_e32 v12, v12, v16
	v_add_f32_e32 v22, v9, v4
	v_fmac_f32_e32 v21, 0xbee1c552, v14
	v_add_f32_e32 v6, v18, v17
	v_sub_f32_e32 v14, v17, v18
	v_mad_u64_u32 v[16:17], s[0:1], s3, v25, v[11:12]
	v_add_f32_e32 v19, v19, v5
	v_add_f32_e32 v4, v21, v22
	v_sub_f32_e32 v17, v22, v21
	v_add_u32_e32 v21, 0x195, v67
	v_sub_f32_e32 v5, v23, v20
	v_add_f32_e32 v9, v13, v19
	v_sub_f32_e32 v13, v19, v13
	v_add_f32_e32 v18, v20, v23
	v_mad_u64_u32 v[19:20], s[0:1], s2, v21, 0
	v_mov_b32_e32 v11, v16
	v_lshlrev_b64 v[10:11], 3, v[10:11]
	v_mov_b32_e32 v16, v20
	v_mad_u64_u32 v[20:21], s[0:1], s3, v21, v[16:17]
	v_add_u32_e32 v16, 0x26d, v67
	v_mad_u64_u32 v[21:22], s[0:1], s2, v16, 0
	v_add_co_u32_e32 v10, vcc, v0, v10
	v_addc_co_u32_e32 v11, vcc, v1, v11, vcc
	global_store_dwordx2 v[10:11], v[2:3], off
	v_mov_b32_e32 v10, v22
	v_mad_u64_u32 v[10:11], s[0:1], s3, v16, v[10:11]
	v_lshlrev_b64 v[2:3], 3, v[19:20]
	v_sub_f32_e32 v7, v24, v15
	v_add_co_u32_e32 v2, vcc, v0, v2
	v_addc_co_u32_e32 v3, vcc, v1, v3, vcc
	v_mov_b32_e32 v22, v10
	v_add_u32_e32 v10, 0x345, v67
	global_store_dwordx2 v[2:3], v[4:5], off
	v_mad_u64_u32 v[4:5], s[0:1], s2, v10, 0
	v_lshlrev_b64 v[2:3], 3, v[21:22]
	v_add_f32_e32 v15, v15, v24
	v_mad_u64_u32 v[10:11], s[0:1], s3, v10, v[5:6]
	v_add_u32_e32 v11, 0x41d, v67
	v_mad_u64_u32 v[19:20], s[0:1], s2, v11, 0
	v_add_co_u32_e32 v2, vcc, v0, v2
	v_addc_co_u32_e32 v3, vcc, v1, v3, vcc
	v_mov_b32_e32 v5, v10
	global_store_dwordx2 v[2:3], v[6:7], off
	v_lshlrev_b64 v[2:3], 3, v[4:5]
	v_mov_b32_e32 v4, v20
	v_mad_u64_u32 v[4:5], s[0:1], s3, v11, v[4:5]
	v_add_u32_e32 v6, 0x4f5, v67
	v_add_co_u32_e32 v2, vcc, v0, v2
	v_mov_b32_e32 v20, v4
	v_mad_u64_u32 v[4:5], s[0:1], s2, v6, 0
	v_addc_co_u32_e32 v3, vcc, v1, v3, vcc
	global_store_dwordx2 v[2:3], v[8:9], off
	v_mad_u64_u32 v[5:6], s[0:1], s3, v6, v[5:6]
	v_add_u32_e32 v8, 0x5cd, v67
	v_lshlrev_b64 v[2:3], 3, v[19:20]
	v_mad_u64_u32 v[6:7], s[0:1], s2, v8, 0
	v_add_co_u32_e32 v2, vcc, v0, v2
	v_addc_co_u32_e32 v3, vcc, v1, v3, vcc
	global_store_dwordx2 v[2:3], v[12:13], off
	v_lshlrev_b64 v[2:3], 3, v[4:5]
	v_mov_b32_e32 v4, v7
	v_mad_u64_u32 v[4:5], s[0:1], s3, v8, v[4:5]
	v_add_co_u32_e32 v2, vcc, v0, v2
	v_addc_co_u32_e32 v3, vcc, v1, v3, vcc
	v_mov_b32_e32 v7, v4
	global_store_dwordx2 v[2:3], v[14:15], off
	v_lshlrev_b64 v[2:3], 3, v[6:7]
	v_add_co_u32_e32 v0, vcc, v0, v2
	v_addc_co_u32_e32 v1, vcc, v1, v3, vcc
	global_store_dwordx2 v[0:1], v[17:18], off
.LBB0_20:
	s_endpgm
	.section	.rodata,"a",@progbits
	.p2align	6, 0x0
	.amdhsa_kernel fft_rtc_back_len1512_factors_2_2_2_3_3_3_7_wgs_63_tpt_63_halfLds_sp_ip_CI_sbrr_dirReg
		.amdhsa_group_segment_fixed_size 0
		.amdhsa_private_segment_fixed_size 0
		.amdhsa_kernarg_size 88
		.amdhsa_user_sgpr_count 6
		.amdhsa_user_sgpr_private_segment_buffer 1
		.amdhsa_user_sgpr_dispatch_ptr 0
		.amdhsa_user_sgpr_queue_ptr 0
		.amdhsa_user_sgpr_kernarg_segment_ptr 1
		.amdhsa_user_sgpr_dispatch_id 0
		.amdhsa_user_sgpr_flat_scratch_init 0
		.amdhsa_user_sgpr_private_segment_size 0
		.amdhsa_uses_dynamic_stack 0
		.amdhsa_system_sgpr_private_segment_wavefront_offset 0
		.amdhsa_system_sgpr_workgroup_id_x 1
		.amdhsa_system_sgpr_workgroup_id_y 0
		.amdhsa_system_sgpr_workgroup_id_z 0
		.amdhsa_system_sgpr_workgroup_info 0
		.amdhsa_system_vgpr_workitem_id 0
		.amdhsa_next_free_vgpr 112
		.amdhsa_next_free_sgpr 24
		.amdhsa_reserve_vcc 1
		.amdhsa_reserve_flat_scratch 0
		.amdhsa_float_round_mode_32 0
		.amdhsa_float_round_mode_16_64 0
		.amdhsa_float_denorm_mode_32 3
		.amdhsa_float_denorm_mode_16_64 3
		.amdhsa_dx10_clamp 1
		.amdhsa_ieee_mode 1
		.amdhsa_fp16_overflow 0
		.amdhsa_exception_fp_ieee_invalid_op 0
		.amdhsa_exception_fp_denorm_src 0
		.amdhsa_exception_fp_ieee_div_zero 0
		.amdhsa_exception_fp_ieee_overflow 0
		.amdhsa_exception_fp_ieee_underflow 0
		.amdhsa_exception_fp_ieee_inexact 0
		.amdhsa_exception_int_div_zero 0
	.end_amdhsa_kernel
	.text
.Lfunc_end0:
	.size	fft_rtc_back_len1512_factors_2_2_2_3_3_3_7_wgs_63_tpt_63_halfLds_sp_ip_CI_sbrr_dirReg, .Lfunc_end0-fft_rtc_back_len1512_factors_2_2_2_3_3_3_7_wgs_63_tpt_63_halfLds_sp_ip_CI_sbrr_dirReg
                                        ; -- End function
	.section	.AMDGPU.csdata,"",@progbits
; Kernel info:
; codeLenInByte = 17044
; NumSgprs: 28
; NumVgprs: 112
; ScratchSize: 0
; MemoryBound: 0
; FloatMode: 240
; IeeeMode: 1
; LDSByteSize: 0 bytes/workgroup (compile time only)
; SGPRBlocks: 3
; VGPRBlocks: 27
; NumSGPRsForWavesPerEU: 28
; NumVGPRsForWavesPerEU: 112
; Occupancy: 2
; WaveLimiterHint : 1
; COMPUTE_PGM_RSRC2:SCRATCH_EN: 0
; COMPUTE_PGM_RSRC2:USER_SGPR: 6
; COMPUTE_PGM_RSRC2:TRAP_HANDLER: 0
; COMPUTE_PGM_RSRC2:TGID_X_EN: 1
; COMPUTE_PGM_RSRC2:TGID_Y_EN: 0
; COMPUTE_PGM_RSRC2:TGID_Z_EN: 0
; COMPUTE_PGM_RSRC2:TIDIG_COMP_CNT: 0
	.type	__hip_cuid_4a7270dcc4a5ef62,@object ; @__hip_cuid_4a7270dcc4a5ef62
	.section	.bss,"aw",@nobits
	.globl	__hip_cuid_4a7270dcc4a5ef62
__hip_cuid_4a7270dcc4a5ef62:
	.byte	0                               ; 0x0
	.size	__hip_cuid_4a7270dcc4a5ef62, 1

	.ident	"AMD clang version 19.0.0git (https://github.com/RadeonOpenCompute/llvm-project roc-6.4.0 25133 c7fe45cf4b819c5991fe208aaa96edf142730f1d)"
	.section	".note.GNU-stack","",@progbits
	.addrsig
	.addrsig_sym __hip_cuid_4a7270dcc4a5ef62
	.amdgpu_metadata
---
amdhsa.kernels:
  - .args:
      - .actual_access:  read_only
        .address_space:  global
        .offset:         0
        .size:           8
        .value_kind:     global_buffer
      - .offset:         8
        .size:           8
        .value_kind:     by_value
      - .actual_access:  read_only
        .address_space:  global
        .offset:         16
        .size:           8
        .value_kind:     global_buffer
      - .actual_access:  read_only
        .address_space:  global
        .offset:         24
        .size:           8
        .value_kind:     global_buffer
      - .offset:         32
        .size:           8
        .value_kind:     by_value
      - .actual_access:  read_only
        .address_space:  global
        .offset:         40
        .size:           8
        .value_kind:     global_buffer
      - .actual_access:  read_only
        .address_space:  global
        .offset:         48
        .size:           8
        .value_kind:     global_buffer
      - .offset:         56
        .size:           4
        .value_kind:     by_value
      - .actual_access:  read_only
        .address_space:  global
        .offset:         64
        .size:           8
        .value_kind:     global_buffer
      - .actual_access:  read_only
        .address_space:  global
        .offset:         72
        .size:           8
        .value_kind:     global_buffer
      - .address_space:  global
        .offset:         80
        .size:           8
        .value_kind:     global_buffer
    .group_segment_fixed_size: 0
    .kernarg_segment_align: 8
    .kernarg_segment_size: 88
    .language:       OpenCL C
    .language_version:
      - 2
      - 0
    .max_flat_workgroup_size: 63
    .name:           fft_rtc_back_len1512_factors_2_2_2_3_3_3_7_wgs_63_tpt_63_halfLds_sp_ip_CI_sbrr_dirReg
    .private_segment_fixed_size: 0
    .sgpr_count:     28
    .sgpr_spill_count: 0
    .symbol:         fft_rtc_back_len1512_factors_2_2_2_3_3_3_7_wgs_63_tpt_63_halfLds_sp_ip_CI_sbrr_dirReg.kd
    .uniform_work_group_size: 1
    .uses_dynamic_stack: false
    .vgpr_count:     112
    .vgpr_spill_count: 0
    .wavefront_size: 64
amdhsa.target:   amdgcn-amd-amdhsa--gfx906
amdhsa.version:
  - 1
  - 2
...

	.end_amdgpu_metadata
